;; amdgpu-corpus repo=ROCm/rocFFT kind=compiled arch=gfx1100 opt=O3
	.text
	.amdgcn_target "amdgcn-amd-amdhsa--gfx1100"
	.amdhsa_code_object_version 6
	.protected	fft_rtc_fwd_len1701_factors_3_3_3_3_3_7_wgs_63_tpt_63_halfLds_sp_ip_CI_unitstride_sbrr_dirReg ; -- Begin function fft_rtc_fwd_len1701_factors_3_3_3_3_3_7_wgs_63_tpt_63_halfLds_sp_ip_CI_unitstride_sbrr_dirReg
	.globl	fft_rtc_fwd_len1701_factors_3_3_3_3_3_7_wgs_63_tpt_63_halfLds_sp_ip_CI_unitstride_sbrr_dirReg
	.p2align	8
	.type	fft_rtc_fwd_len1701_factors_3_3_3_3_3_7_wgs_63_tpt_63_halfLds_sp_ip_CI_unitstride_sbrr_dirReg,@function
fft_rtc_fwd_len1701_factors_3_3_3_3_3_7_wgs_63_tpt_63_halfLds_sp_ip_CI_unitstride_sbrr_dirReg: ; @fft_rtc_fwd_len1701_factors_3_3_3_3_3_7_wgs_63_tpt_63_halfLds_sp_ip_CI_unitstride_sbrr_dirReg
; %bb.0:
	s_clause 0x2
	s_load_b128 s[4:7], s[0:1], 0x0
	s_load_b64 s[8:9], s[0:1], 0x50
	s_load_b64 s[10:11], s[0:1], 0x18
	v_mul_u32_u24_e32 v1, 0x411, v0
	v_mov_b32_e32 v3, 0
	v_mov_b32_e32 v4, 0
	s_delay_alu instid0(VALU_DEP_3) | instskip(SKIP_1) | instid1(VALU_DEP_1)
	v_lshrrev_b32_e32 v2, 16, v1
	v_mov_b32_e32 v1, 0
	v_dual_mov_b32 v6, v1 :: v_dual_add_nc_u32 v5, s15, v2
	s_waitcnt lgkmcnt(0)
	v_cmp_lt_u64_e64 s2, s[6:7], 2
	s_delay_alu instid0(VALU_DEP_1)
	s_and_b32 vcc_lo, exec_lo, s2
	s_cbranch_vccnz .LBB0_8
; %bb.1:
	s_load_b64 s[2:3], s[0:1], 0x10
	v_mov_b32_e32 v3, 0
	s_add_u32 s12, s10, 8
	v_mov_b32_e32 v4, 0
	s_addc_u32 s13, s11, 0
	s_mov_b64 s[16:17], 1
	s_waitcnt lgkmcnt(0)
	s_add_u32 s14, s2, 8
	s_addc_u32 s15, s3, 0
.LBB0_2:                                ; =>This Inner Loop Header: Depth=1
	s_load_b64 s[18:19], s[14:15], 0x0
                                        ; implicit-def: $vgpr7_vgpr8
	s_mov_b32 s2, exec_lo
	s_waitcnt lgkmcnt(0)
	v_or_b32_e32 v2, s19, v6
	s_delay_alu instid0(VALU_DEP_1)
	v_cmpx_ne_u64_e32 0, v[1:2]
	s_xor_b32 s3, exec_lo, s2
	s_cbranch_execz .LBB0_4
; %bb.3:                                ;   in Loop: Header=BB0_2 Depth=1
	v_cvt_f32_u32_e32 v2, s18
	v_cvt_f32_u32_e32 v7, s19
	s_sub_u32 s2, 0, s18
	s_subb_u32 s20, 0, s19
	s_delay_alu instid0(VALU_DEP_1) | instskip(NEXT) | instid1(VALU_DEP_1)
	v_fmac_f32_e32 v2, 0x4f800000, v7
	v_rcp_f32_e32 v2, v2
	s_waitcnt_depctr 0xfff
	v_mul_f32_e32 v2, 0x5f7ffffc, v2
	s_delay_alu instid0(VALU_DEP_1) | instskip(NEXT) | instid1(VALU_DEP_1)
	v_mul_f32_e32 v7, 0x2f800000, v2
	v_trunc_f32_e32 v7, v7
	s_delay_alu instid0(VALU_DEP_1) | instskip(SKIP_1) | instid1(VALU_DEP_2)
	v_fmac_f32_e32 v2, 0xcf800000, v7
	v_cvt_u32_f32_e32 v7, v7
	v_cvt_u32_f32_e32 v2, v2
	s_delay_alu instid0(VALU_DEP_2) | instskip(NEXT) | instid1(VALU_DEP_2)
	v_mul_lo_u32 v8, s2, v7
	v_mul_hi_u32 v9, s2, v2
	v_mul_lo_u32 v10, s20, v2
	s_delay_alu instid0(VALU_DEP_2) | instskip(SKIP_1) | instid1(VALU_DEP_2)
	v_add_nc_u32_e32 v8, v9, v8
	v_mul_lo_u32 v9, s2, v2
	v_add_nc_u32_e32 v8, v8, v10
	s_delay_alu instid0(VALU_DEP_2) | instskip(NEXT) | instid1(VALU_DEP_2)
	v_mul_hi_u32 v10, v2, v9
	v_mul_lo_u32 v11, v2, v8
	v_mul_hi_u32 v12, v2, v8
	v_mul_hi_u32 v13, v7, v9
	v_mul_lo_u32 v9, v7, v9
	v_mul_hi_u32 v14, v7, v8
	v_mul_lo_u32 v8, v7, v8
	v_add_co_u32 v10, vcc_lo, v10, v11
	v_add_co_ci_u32_e32 v11, vcc_lo, 0, v12, vcc_lo
	s_delay_alu instid0(VALU_DEP_2) | instskip(NEXT) | instid1(VALU_DEP_2)
	v_add_co_u32 v9, vcc_lo, v10, v9
	v_add_co_ci_u32_e32 v9, vcc_lo, v11, v13, vcc_lo
	v_add_co_ci_u32_e32 v10, vcc_lo, 0, v14, vcc_lo
	s_delay_alu instid0(VALU_DEP_2) | instskip(NEXT) | instid1(VALU_DEP_2)
	v_add_co_u32 v8, vcc_lo, v9, v8
	v_add_co_ci_u32_e32 v9, vcc_lo, 0, v10, vcc_lo
	s_delay_alu instid0(VALU_DEP_2) | instskip(NEXT) | instid1(VALU_DEP_2)
	v_add_co_u32 v2, vcc_lo, v2, v8
	v_add_co_ci_u32_e32 v7, vcc_lo, v7, v9, vcc_lo
	s_delay_alu instid0(VALU_DEP_2) | instskip(SKIP_1) | instid1(VALU_DEP_3)
	v_mul_hi_u32 v8, s2, v2
	v_mul_lo_u32 v10, s20, v2
	v_mul_lo_u32 v9, s2, v7
	s_delay_alu instid0(VALU_DEP_1) | instskip(SKIP_1) | instid1(VALU_DEP_2)
	v_add_nc_u32_e32 v8, v8, v9
	v_mul_lo_u32 v9, s2, v2
	v_add_nc_u32_e32 v8, v8, v10
	s_delay_alu instid0(VALU_DEP_2) | instskip(NEXT) | instid1(VALU_DEP_2)
	v_mul_hi_u32 v10, v2, v9
	v_mul_lo_u32 v11, v2, v8
	v_mul_hi_u32 v12, v2, v8
	v_mul_hi_u32 v13, v7, v9
	v_mul_lo_u32 v9, v7, v9
	v_mul_hi_u32 v14, v7, v8
	v_mul_lo_u32 v8, v7, v8
	v_add_co_u32 v10, vcc_lo, v10, v11
	v_add_co_ci_u32_e32 v11, vcc_lo, 0, v12, vcc_lo
	s_delay_alu instid0(VALU_DEP_2) | instskip(NEXT) | instid1(VALU_DEP_2)
	v_add_co_u32 v9, vcc_lo, v10, v9
	v_add_co_ci_u32_e32 v9, vcc_lo, v11, v13, vcc_lo
	v_add_co_ci_u32_e32 v10, vcc_lo, 0, v14, vcc_lo
	s_delay_alu instid0(VALU_DEP_2) | instskip(NEXT) | instid1(VALU_DEP_2)
	v_add_co_u32 v8, vcc_lo, v9, v8
	v_add_co_ci_u32_e32 v9, vcc_lo, 0, v10, vcc_lo
	s_delay_alu instid0(VALU_DEP_2) | instskip(NEXT) | instid1(VALU_DEP_2)
	v_add_co_u32 v2, vcc_lo, v2, v8
	v_add_co_ci_u32_e32 v13, vcc_lo, v7, v9, vcc_lo
	s_delay_alu instid0(VALU_DEP_2) | instskip(SKIP_1) | instid1(VALU_DEP_3)
	v_mul_hi_u32 v14, v5, v2
	v_mad_u64_u32 v[9:10], null, v6, v2, 0
	v_mad_u64_u32 v[7:8], null, v5, v13, 0
	;; [unrolled: 1-line block ×3, first 2 shown]
	s_delay_alu instid0(VALU_DEP_2) | instskip(NEXT) | instid1(VALU_DEP_3)
	v_add_co_u32 v2, vcc_lo, v14, v7
	v_add_co_ci_u32_e32 v7, vcc_lo, 0, v8, vcc_lo
	s_delay_alu instid0(VALU_DEP_2) | instskip(NEXT) | instid1(VALU_DEP_2)
	v_add_co_u32 v2, vcc_lo, v2, v9
	v_add_co_ci_u32_e32 v2, vcc_lo, v7, v10, vcc_lo
	v_add_co_ci_u32_e32 v7, vcc_lo, 0, v12, vcc_lo
	s_delay_alu instid0(VALU_DEP_2) | instskip(NEXT) | instid1(VALU_DEP_2)
	v_add_co_u32 v2, vcc_lo, v2, v11
	v_add_co_ci_u32_e32 v9, vcc_lo, 0, v7, vcc_lo
	s_delay_alu instid0(VALU_DEP_2) | instskip(SKIP_1) | instid1(VALU_DEP_3)
	v_mul_lo_u32 v10, s19, v2
	v_mad_u64_u32 v[7:8], null, s18, v2, 0
	v_mul_lo_u32 v11, s18, v9
	s_delay_alu instid0(VALU_DEP_2) | instskip(NEXT) | instid1(VALU_DEP_2)
	v_sub_co_u32 v7, vcc_lo, v5, v7
	v_add3_u32 v8, v8, v11, v10
	s_delay_alu instid0(VALU_DEP_1) | instskip(NEXT) | instid1(VALU_DEP_1)
	v_sub_nc_u32_e32 v10, v6, v8
	v_subrev_co_ci_u32_e64 v10, s2, s19, v10, vcc_lo
	v_add_co_u32 v11, s2, v2, 2
	s_delay_alu instid0(VALU_DEP_1) | instskip(SKIP_3) | instid1(VALU_DEP_3)
	v_add_co_ci_u32_e64 v12, s2, 0, v9, s2
	v_sub_co_u32 v13, s2, v7, s18
	v_sub_co_ci_u32_e32 v8, vcc_lo, v6, v8, vcc_lo
	v_subrev_co_ci_u32_e64 v10, s2, 0, v10, s2
	v_cmp_le_u32_e32 vcc_lo, s18, v13
	s_delay_alu instid0(VALU_DEP_3) | instskip(SKIP_1) | instid1(VALU_DEP_4)
	v_cmp_eq_u32_e64 s2, s19, v8
	v_cndmask_b32_e64 v13, 0, -1, vcc_lo
	v_cmp_le_u32_e32 vcc_lo, s19, v10
	v_cndmask_b32_e64 v14, 0, -1, vcc_lo
	v_cmp_le_u32_e32 vcc_lo, s18, v7
	;; [unrolled: 2-line block ×3, first 2 shown]
	v_cndmask_b32_e64 v15, 0, -1, vcc_lo
	v_cmp_eq_u32_e32 vcc_lo, s19, v10
	s_delay_alu instid0(VALU_DEP_2) | instskip(SKIP_3) | instid1(VALU_DEP_3)
	v_cndmask_b32_e64 v7, v15, v7, s2
	v_cndmask_b32_e32 v10, v14, v13, vcc_lo
	v_add_co_u32 v13, vcc_lo, v2, 1
	v_add_co_ci_u32_e32 v14, vcc_lo, 0, v9, vcc_lo
	v_cmp_ne_u32_e32 vcc_lo, 0, v10
	s_delay_alu instid0(VALU_DEP_2) | instskip(NEXT) | instid1(VALU_DEP_4)
	v_cndmask_b32_e32 v8, v14, v12, vcc_lo
	v_cndmask_b32_e32 v10, v13, v11, vcc_lo
	v_cmp_ne_u32_e32 vcc_lo, 0, v7
	s_delay_alu instid0(VALU_DEP_2)
	v_dual_cndmask_b32 v7, v2, v10 :: v_dual_cndmask_b32 v8, v9, v8
.LBB0_4:                                ;   in Loop: Header=BB0_2 Depth=1
	s_and_not1_saveexec_b32 s2, s3
	s_cbranch_execz .LBB0_6
; %bb.5:                                ;   in Loop: Header=BB0_2 Depth=1
	v_cvt_f32_u32_e32 v2, s18
	s_sub_i32 s3, 0, s18
	s_delay_alu instid0(VALU_DEP_1) | instskip(SKIP_2) | instid1(VALU_DEP_1)
	v_rcp_iflag_f32_e32 v2, v2
	s_waitcnt_depctr 0xfff
	v_mul_f32_e32 v2, 0x4f7ffffe, v2
	v_cvt_u32_f32_e32 v2, v2
	s_delay_alu instid0(VALU_DEP_1) | instskip(NEXT) | instid1(VALU_DEP_1)
	v_mul_lo_u32 v7, s3, v2
	v_mul_hi_u32 v7, v2, v7
	s_delay_alu instid0(VALU_DEP_1) | instskip(NEXT) | instid1(VALU_DEP_1)
	v_add_nc_u32_e32 v2, v2, v7
	v_mul_hi_u32 v2, v5, v2
	s_delay_alu instid0(VALU_DEP_1) | instskip(SKIP_1) | instid1(VALU_DEP_2)
	v_mul_lo_u32 v7, v2, s18
	v_add_nc_u32_e32 v8, 1, v2
	v_sub_nc_u32_e32 v7, v5, v7
	s_delay_alu instid0(VALU_DEP_1) | instskip(SKIP_1) | instid1(VALU_DEP_2)
	v_subrev_nc_u32_e32 v9, s18, v7
	v_cmp_le_u32_e32 vcc_lo, s18, v7
	v_dual_cndmask_b32 v7, v7, v9 :: v_dual_cndmask_b32 v2, v2, v8
	s_delay_alu instid0(VALU_DEP_1) | instskip(NEXT) | instid1(VALU_DEP_2)
	v_cmp_le_u32_e32 vcc_lo, s18, v7
	v_add_nc_u32_e32 v8, 1, v2
	s_delay_alu instid0(VALU_DEP_1)
	v_dual_cndmask_b32 v7, v2, v8 :: v_dual_mov_b32 v8, v1
.LBB0_6:                                ;   in Loop: Header=BB0_2 Depth=1
	s_or_b32 exec_lo, exec_lo, s2
	s_load_b64 s[2:3], s[12:13], 0x0
	s_delay_alu instid0(VALU_DEP_1) | instskip(NEXT) | instid1(VALU_DEP_2)
	v_mul_lo_u32 v2, v8, s18
	v_mul_lo_u32 v11, v7, s19
	v_mad_u64_u32 v[9:10], null, v7, s18, 0
	s_add_u32 s16, s16, 1
	s_addc_u32 s17, s17, 0
	s_add_u32 s12, s12, 8
	s_addc_u32 s13, s13, 0
	;; [unrolled: 2-line block ×3, first 2 shown]
	s_delay_alu instid0(VALU_DEP_1) | instskip(SKIP_1) | instid1(VALU_DEP_2)
	v_add3_u32 v2, v10, v11, v2
	v_sub_co_u32 v9, vcc_lo, v5, v9
	v_sub_co_ci_u32_e32 v2, vcc_lo, v6, v2, vcc_lo
	s_waitcnt lgkmcnt(0)
	s_delay_alu instid0(VALU_DEP_2) | instskip(NEXT) | instid1(VALU_DEP_2)
	v_mul_lo_u32 v10, s3, v9
	v_mul_lo_u32 v2, s2, v2
	v_mad_u64_u32 v[5:6], null, s2, v9, v[3:4]
	v_cmp_ge_u64_e64 s2, s[16:17], s[6:7]
	s_delay_alu instid0(VALU_DEP_1) | instskip(NEXT) | instid1(VALU_DEP_2)
	s_and_b32 vcc_lo, exec_lo, s2
	v_add3_u32 v4, v10, v6, v2
	s_delay_alu instid0(VALU_DEP_3)
	v_mov_b32_e32 v3, v5
	s_cbranch_vccnz .LBB0_9
; %bb.7:                                ;   in Loop: Header=BB0_2 Depth=1
	v_dual_mov_b32 v5, v7 :: v_dual_mov_b32 v6, v8
	s_branch .LBB0_2
.LBB0_8:
	v_dual_mov_b32 v8, v6 :: v_dual_mov_b32 v7, v5
.LBB0_9:
	s_lshl_b64 s[2:3], s[6:7], 3
                                        ; implicit-def: $vgpr35
                                        ; implicit-def: $vgpr67
                                        ; implicit-def: $vgpr61
                                        ; implicit-def: $vgpr37
                                        ; implicit-def: $vgpr39
                                        ; implicit-def: $vgpr41
                                        ; implicit-def: $vgpr43
                                        ; implicit-def: $vgpr45
                                        ; implicit-def: $vgpr10
                                        ; implicit-def: $vgpr47
                                        ; implicit-def: $vgpr12
                                        ; implicit-def: $vgpr15
                                        ; implicit-def: $vgpr51
                                        ; implicit-def: $vgpr30
                                        ; implicit-def: $vgpr24
                                        ; implicit-def: $vgpr26
                                        ; implicit-def: $vgpr18
                                        ; implicit-def: $vgpr65
                                        ; implicit-def: $vgpr55
                                        ; implicit-def: $vgpr59
                                        ; implicit-def: $vgpr63
                                        ; implicit-def: $vgpr20
                                        ; implicit-def: $vgpr53
                                        ; implicit-def: $vgpr49
                                        ; implicit-def: $vgpr57
	s_delay_alu instid0(SALU_CYCLE_1)
	s_add_u32 s2, s10, s2
	s_addc_u32 s3, s11, s3
	s_load_b64 s[2:3], s[2:3], 0x0
	s_load_b64 s[0:1], s[0:1], 0x20
	s_waitcnt lgkmcnt(0)
	v_mul_lo_u32 v5, s2, v8
	v_mul_lo_u32 v6, s3, v7
	v_mad_u64_u32 v[1:2], null, s2, v7, v[3:4]
	v_mul_hi_u32 v3, 0x4104105, v0
	v_cmp_gt_u64_e32 vcc_lo, s[0:1], v[7:8]
                                        ; implicit-def: $vgpr7
	s_delay_alu instid0(VALU_DEP_3) | instskip(NEXT) | instid1(VALU_DEP_3)
	v_add3_u32 v2, v6, v2, v5
                                        ; implicit-def: $vgpr5
	v_mul_u32_u24_e32 v4, 63, v3
	s_delay_alu instid0(VALU_DEP_2) | instskip(NEXT) | instid1(VALU_DEP_2)
	v_lshlrev_b64 v[2:3], 3, v[1:2]
	v_sub_nc_u32_e32 v0, v0, v4
	s_and_saveexec_b32 s1, vcc_lo
	s_cbranch_execz .LBB0_11
; %bb.10:
	v_mov_b32_e32 v1, 0
	s_delay_alu instid0(VALU_DEP_1) | instskip(SKIP_1) | instid1(VALU_DEP_1)
	v_lshlrev_b64 v[4:5], 3, v[0:1]
	v_add_co_u32 v1, s0, s8, v2
	v_add_co_ci_u32_e64 v6, s0, s9, v3, s0
	s_delay_alu instid0(VALU_DEP_2) | instskip(NEXT) | instid1(VALU_DEP_1)
	v_add_co_u32 v16, s0, v1, v4
	v_add_co_ci_u32_e64 v17, s0, v6, v5, s0
	s_delay_alu instid0(VALU_DEP_2) | instskip(NEXT) | instid1(VALU_DEP_1)
	v_add_co_u32 v21, s0, 0x2000, v16
	v_add_co_ci_u32_e64 v22, s0, 0, v17, s0
	v_add_co_u32 v23, s0, 0x1000, v16
	s_delay_alu instid0(VALU_DEP_1)
	v_add_co_ci_u32_e64 v24, s0, 0, v17, s0
	v_add_co_u32 v25, s0, 0x3000, v16
	s_clause 0x13
	global_load_b64 v[48:49], v[21:22], off offset:1384
	global_load_b64 v[36:37], v[23:24], off offset:944
	;; [unrolled: 1-line block ×3, first 2 shown]
	global_load_b64 v[34:35], v[16:17], off
	global_load_b64 v[56:57], v[16:17], off offset:504
	global_load_b64 v[52:53], v[16:17], off offset:1008
	;; [unrolled: 1-line block ×16, first 2 shown]
	v_add_co_ci_u32_e64 v26, s0, 0, v17, s0
	s_clause 0x6
	global_load_b64 v[66:67], v[23:24], off offset:440
	global_load_b64 v[17:18], v[16:17], off offset:4032
	global_load_b64 v[60:61], v[21:22], off offset:880
	global_load_b64 v[23:24], v[21:22], off offset:376
	global_load_b64 v[64:65], v[21:22], off offset:3904
	global_load_b64 v[29:30], v[25:26], off offset:312
	global_load_b64 v[25:26], v[25:26], off offset:816
.LBB0_11:
	s_or_b32 exec_lo, exec_lo, s1
	s_waitcnt vmcnt(4)
	v_dual_add_f32 v8, v34, v66 :: v_dual_sub_f32 v13, v67, v61
	v_add_f32_e32 v1, v66, v60
	v_dual_add_f32 v16, v36, v48 :: v_dual_sub_f32 v21, v37, v49
	s_delay_alu instid0(VALU_DEP_3) | instskip(SKIP_1) | instid1(VALU_DEP_4)
	v_add_f32_e32 v8, v8, v60
	v_add_f32_e32 v80, v5, v53
	v_dual_fmac_f32 v34, -0.5, v1 :: v_dual_add_f32 v1, v36, v56
	s_delay_alu instid0(VALU_DEP_4) | instskip(SKIP_2) | instid1(VALU_DEP_4)
	v_fmac_f32_e32 v56, -0.5, v16
	v_add_f32_e32 v27, v4, v52
	v_add_f32_e32 v81, v41, v7
	v_fmamk_f32 v16, v13, 0x3f5db3d7, v34
	v_dual_fmac_f32 v34, 0xbf5db3d7, v13 :: v_dual_add_f32 v13, v4, v38
	v_dual_add_f32 v1, v48, v1 :: v_dual_fmamk_f32 v22, v21, 0x3f5db3d7, v56
	v_dual_fmac_f32 v56, 0xbf5db3d7, v21 :: v_dual_add_f32 v21, v5, v39
	s_delay_alu instid0(VALU_DEP_3) | instskip(SKIP_1) | instid1(VALU_DEP_3)
	v_dual_fmac_f32 v52, -0.5, v13 :: v_dual_sub_f32 v13, v5, v39
	v_dual_add_f32 v5, v38, v27 :: v_dual_sub_f32 v4, v4, v38
	v_fmac_f32_e32 v53, -0.5, v21
	v_add_f32_e32 v27, v40, v6
	s_delay_alu instid0(VALU_DEP_4) | instskip(SKIP_1) | instid1(VALU_DEP_4)
	v_fmamk_f32 v21, v13, 0x3f5db3d7, v52
	v_dual_fmac_f32 v52, 0xbf5db3d7, v13 :: v_dual_add_f32 v13, v42, v6
	v_fmamk_f32 v78, v4, 0xbf5db3d7, v53
	v_dual_fmac_f32 v53, 0x3f5db3d7, v4 :: v_dual_add_f32 v4, v43, v7
	s_delay_alu instid0(VALU_DEP_3) | instskip(SKIP_1) | instid1(VALU_DEP_3)
	v_dual_add_f32 v27, v42, v27 :: v_dual_fmac_f32 v40, -0.5, v13
	v_dual_sub_f32 v13, v7, v43 :: v_dual_sub_f32 v6, v6, v42
	v_dual_fmac_f32 v41, -0.5, v4 :: v_dual_add_f32 v4, v44, v62
	s_delay_alu instid0(VALU_DEP_2) | instskip(SKIP_1) | instid1(VALU_DEP_3)
	v_dual_add_f32 v32, v11, v54 :: v_dual_fmamk_f32 v7, v13, 0x3f5db3d7, v40
	v_dual_fmac_f32 v40, 0xbf5db3d7, v13 :: v_dual_add_f32 v13, v62, v19
	v_dual_fmac_f32 v19, -0.5, v4 :: v_dual_sub_f32 v4, v63, v45
	s_delay_alu instid0(VALU_DEP_4)
	v_fmamk_f32 v79, v6, 0xbf5db3d7, v41
	v_fmac_f32_e32 v41, 0x3f5db3d7, v6
	v_add_f32_e32 v31, v9, v46
	v_add_f32_e32 v42, v14, v50
	v_fmamk_f32 v28, v4, 0x3f5db3d7, v19
	v_dual_add_f32 v6, v44, v13 :: v_dual_fmac_f32 v19, 0xbf5db3d7, v4
	s_waitcnt vmcnt(2)
	v_add_f32_e32 v4, v64, v54
	v_mad_u32_u24 v82, v0, 12, 0
	v_add_f32_e32 v68, v23, v17
	s_waitcnt vmcnt(1)
	v_add_f32_e32 v42, v42, v29
	v_dual_add_f32 v92, v37, v49 :: v_dual_fmac_f32 v11, -0.5, v4
	v_dual_sub_f32 v4, v55, v65 :: v_dual_add_f32 v13, v46, v58
	v_dual_sub_f32 v60, v66, v60 :: v_dual_add_nc_u32 v83, 0x500, v82
	v_add_nc_u32_e32 v84, 0x5e8, v82
	s_delay_alu instid0(VALU_DEP_3) | instskip(NEXT) | instid1(VALU_DEP_4)
	v_fmamk_f32 v38, v4, 0x3f5db3d7, v11
	v_fmac_f32_e32 v9, -0.5, v13
	v_sub_f32_e32 v13, v47, v59
	s_waitcnt vmcnt(0)
	v_dual_fmac_f32 v11, 0xbf5db3d7, v4 :: v_dual_add_f32 v4, v23, v25
	v_add_nc_u32_e32 v87, 0xb00, v82
	v_dual_sub_f32 v36, v36, v48 :: v_dual_add_nc_u32 v85, 0x8dc, v82
	v_fmamk_f32 v33, v13, 0x3f5db3d7, v9
	v_fmac_f32_e32 v9, 0xbf5db3d7, v13
	v_dual_add_f32 v13, v64, v32 :: v_dual_add_f32 v32, v50, v29
	v_add_f32_e32 v31, v31, v58
	v_fmac_f32_e32 v17, -0.5, v4
	v_add_nc_u32_e32 v89, 0x11bc, v82
	v_add_nc_u32_e32 v86, 0xbd0, v82
	v_fmac_f32_e32 v14, -0.5, v32
	v_sub_f32_e32 v32, v51, v30
	v_add_nc_u32_e32 v88, 0xec8, v82
	v_sub_f32_e32 v4, v24, v26
	ds_store_2addr_b32 v82, v34, v56 offset0:2 offset1:191
	ds_store_2addr_b32 v83, v52, v40 offset0:60 offset1:249
	v_fmamk_f32 v69, v32, 0x3f5db3d7, v14
	v_fmac_f32_e32 v14, 0xbf5db3d7, v32
	ds_store_2addr_b32 v84, v5, v21 offset1:1
	ds_store_2addr_b32 v85, v27, v7 offset1:1
	;; [unrolled: 1-line block ×3, first 2 shown]
	ds_store_2addr_b32 v87, v19, v31 offset0:54 offset1:241
	ds_store_2addr_b32 v82, v8, v16 offset1:1
	ds_store_2addr_b32 v82, v1, v22 offset0:189 offset1:190
	ds_store_2addr_b32 v88, v33, v9 offset1:1
	ds_store_b32 v82, v13 offset:4536
	ds_store_2addr_b32 v89, v38, v11 offset1:1
	v_dual_add_f32 v11, v67, v61 :: v_dual_add_f32 v32, v25, v68
	v_dual_fmamk_f32 v68, v4, 0x3f5db3d7, v17 :: v_dual_add_f32 v67, v35, v67
	v_add_nc_u32_e32 v90, 0x14b0, v82
	v_lshl_add_u32 v1, v0, 2, 0
	s_delay_alu instid0(VALU_DEP_4)
	v_fmac_f32_e32 v35, -0.5, v11
	v_add_f32_e32 v11, v37, v57
	v_fmac_f32_e32 v57, -0.5, v92
	v_fmac_f32_e32 v17, 0xbf5db3d7, v4
	v_add_nc_u32_e32 v56, 0x1000, v1
	v_fmamk_f32 v48, v60, 0xbf5db3d7, v35
	v_fmac_f32_e32 v35, 0x3f5db3d7, v60
	v_fmamk_f32 v60, v36, 0xbf5db3d7, v57
	v_dual_fmac_f32 v57, 0x3f5db3d7, v36 :: v_dual_add_f32 v36, v49, v11
	v_dual_add_f32 v11, v63, v20 :: v_dual_add_nc_u32 v72, 0x1200, v1
	v_dual_add_f32 v37, v45, v63 :: v_dual_add_nc_u32 v52, 0x600, v1
	v_add_f32_e32 v49, v39, v80
	v_add_nc_u32_e32 v73, 0x800, v1
	ds_store_b32 v82, v42 offset:5292
	v_dual_sub_f32 v39, v62, v44 :: v_dual_add_nc_u32 v42, 0xa00, v1
	v_add_nc_u32_e32 v74, 0xc00, v1
	v_add_f32_e32 v44, v45, v11
	v_add_f32_e32 v11, v47, v59
	v_add_nc_u32_e32 v91, 0x17a4, v82
	v_add_nc_u32_e32 v76, 0x400, v1
	;; [unrolled: 1-line block ×3, first 2 shown]
	v_fmac_f32_e32 v20, -0.5, v37
	ds_store_2addr_b32 v90, v69, v14 offset1:1
	ds_store_b32 v82, v32 offset:6048
	ds_store_2addr_b32 v91, v68, v17 offset1:1
	s_waitcnt lgkmcnt(0)
	s_barrier
	buffer_gl0_inv
	ds_load_2addr_b32 v[13:14], v1 offset1:63
	ds_load_2addr_b32 v[4:5], v52 offset0:120 offset1:183
	ds_load_2addr_b32 v[21:22], v56 offset0:110 offset1:173
	v_add_nc_u32_e32 v38, 0x200, v1
	v_add_nc_u32_e32 v75, 0x1400, v1
	ds_load_b32 v19, v1 offset:6552
	ds_load_2addr_b32 v[27:28], v73 offset0:118 offset1:181
	ds_load_2addr_b32 v[8:9], v1 offset0:126 offset1:189
	;; [unrolled: 1-line block ×7, first 2 shown]
	v_add_nc_u32_e32 v77, 0xe00, v1
	v_sub_f32_e32 v37, v46, v58
	ds_load_2addr_b32 v[16:17], v76 offset0:122 offset1:185
	ds_load_2addr_b32 v[104:105], v40 offset0:104 offset1:167
	;; [unrolled: 1-line block ×3, first 2 shown]
	s_waitcnt lgkmcnt(0)
	s_barrier
	buffer_gl0_inv
	v_fmamk_f32 v46, v39, 0xbf5db3d7, v20
	v_fmac_f32_e32 v20, 0x3f5db3d7, v39
	ds_store_2addr_b32 v83, v53, v41 offset0:60 offset1:249
	ds_store_2addr_b32 v82, v35, v57 offset0:2 offset1:191
	v_add_f32_e32 v41, v10, v47
	v_fmac_f32_e32 v10, -0.5, v11
	v_add_f32_e32 v11, v12, v55
	v_add_f32_e32 v35, v67, v61
	;; [unrolled: 1-line block ×5, first 2 shown]
	v_fmamk_f32 v47, v37, 0xbf5db3d7, v10
	v_fmac_f32_e32 v10, 0x3f5db3d7, v37
	v_sub_f32_e32 v23, v23, v25
	ds_store_2addr_b32 v84, v49, v78 offset1:1
	ds_store_2addr_b32 v85, v53, v79 offset1:1
	;; [unrolled: 1-line block ×3, first 2 shown]
	ds_store_2addr_b32 v87, v20, v45 offset0:54 offset1:241
	v_fmac_f32_e32 v12, -0.5, v41
	ds_store_2addr_b32 v82, v35, v48 offset1:1
	ds_store_2addr_b32 v82, v36, v60 offset0:189 offset1:190
	ds_store_2addr_b32 v88, v47, v10 offset1:1
	v_dual_sub_f32 v29, v50, v29 :: v_dual_add_nc_u32 v48, 0xfc, v0
	v_sub_f32_e32 v39, v54, v64
	v_dual_add_f32 v41, v51, v30 :: v_dual_add_f32 v54, v65, v11
	v_dual_add_f32 v11, v15, v51 :: v_dual_add_nc_u32 v44, 0x1f8, v0
	v_add_nc_u32_e32 v37, 0x17a, v0
	s_delay_alu instid0(VALU_DEP_3) | instskip(SKIP_1) | instid1(VALU_DEP_4)
	v_fmac_f32_e32 v15, -0.5, v41
	v_add_f32_e32 v41, v24, v26
	v_add_f32_e32 v30, v11, v30
	;; [unrolled: 1-line block ×3, first 2 shown]
	v_and_b32_e32 v43, 0xffff, v37
	s_delay_alu instid0(VALU_DEP_4) | instskip(SKIP_1) | instid1(VALU_DEP_4)
	v_dual_fmac_f32 v18, -0.5, v41 :: v_dual_and_b32 v45, 0xffff, v44
	v_cmp_gt_u32_e64 s0, 18, v0
	v_add_f32_e32 v25, v26, v11
	s_delay_alu instid0(VALU_DEP_4) | instskip(NEXT) | instid1(VALU_DEP_4)
	v_mul_u32_u24_e32 v24, 0xaaab, v43
	v_fmamk_f32 v26, v23, 0xbf5db3d7, v18
	v_fmac_f32_e32 v18, 0x3f5db3d7, v23
	v_dual_fmamk_f32 v50, v29, 0xbf5db3d7, v15 :: v_dual_fmamk_f32 v55, v39, 0xbf5db3d7, v12
	v_fmac_f32_e32 v12, 0x3f5db3d7, v39
	v_add_nc_u32_e32 v39, 0x1b9, v0
	v_lshrrev_b32_e32 v11, 17, v24
	v_fmac_f32_e32 v15, 0x3f5db3d7, v29
	ds_store_b32 v82, v54 offset:4536
	ds_store_2addr_b32 v89, v55, v12 offset1:1
	ds_store_b32 v82, v30 offset:5292
	v_add_nc_u32_e32 v54, 63, v0
	v_and_b32_e32 v41, 0xffff, v39
	ds_store_2addr_b32 v90, v50, v15 offset1:1
	ds_store_b32 v82, v25 offset:6048
	ds_store_2addr_b32 v91, v26, v18 offset1:1
	s_waitcnt lgkmcnt(0)
	s_barrier
	v_mul_u32_u24_e32 v23, 0xaaab, v41
	buffer_gl0_inv
	v_and_b32_e32 v50, 0xffff, v48
	v_lshrrev_b32_e32 v20, 17, v23
	v_mul_lo_u16 v23, v11, 3
	v_mul_u32_u24_e32 v11, 36, v11
	s_delay_alu instid0(VALU_DEP_3) | instskip(NEXT) | instid1(VALU_DEP_3)
	v_mul_lo_u16 v10, v20, 3
	v_sub_nc_u16 v23, v37, v23
	s_delay_alu instid0(VALU_DEP_2) | instskip(NEXT) | instid1(VALU_DEP_2)
	v_sub_nc_u16 v10, v39, v10
	v_and_b32_e32 v23, 0xffff, v23
	s_delay_alu instid0(VALU_DEP_2) | instskip(NEXT) | instid1(VALU_DEP_2)
	v_and_b32_e32 v15, 0xffff, v10
	v_lshlrev_b32_e32 v10, 4, v23
	s_delay_alu instid0(VALU_DEP_2)
	v_lshlrev_b32_e32 v12, 4, v15
	s_clause 0x1
	global_load_b128 v[59:62], v10, s[4:5]
	global_load_b128 v[80:83], v12, s[4:5]
	v_mul_u32_u24_e32 v10, 0xaaab, v45
	v_add_nc_u32_e32 v64, 0xbd, v0
	v_add_nc_u32_e32 v46, 0x7e, v0
	s_delay_alu instid0(VALU_DEP_3) | instskip(NEXT) | instid1(VALU_DEP_1)
	v_lshrrev_b32_e32 v10, 17, v10
	v_mul_lo_u16 v12, v10, 3
	v_mul_u32_u24_e32 v10, 36, v10
	s_delay_alu instid0(VALU_DEP_2) | instskip(NEXT) | instid1(VALU_DEP_1)
	v_sub_nc_u16 v12, v44, v12
	v_and_b32_e32 v12, 0xffff, v12
	s_delay_alu instid0(VALU_DEP_1)
	v_lshlrev_b32_e32 v25, 4, v12
	global_load_b128 v[84:87], v25, s[4:5]
	v_add_nc_u32_e32 v47, 0x13b, v0
	v_and_b32_e32 v51, 0xff, v64
	s_waitcnt vmcnt(2)
	v_mul_f32_e32 v66, v71, v60
	s_waitcnt vmcnt(0)
	v_dual_mul_f32 v78, v112, v85 :: v_dual_and_b32 v49, 0xffff, v47
	s_delay_alu instid0(VALU_DEP_1) | instskip(NEXT) | instid1(VALU_DEP_1)
	v_mul_u32_u24_e32 v18, 0xaaab, v49
	v_lshrrev_b32_e32 v24, 17, v18
	v_mul_u32_u24_e32 v18, 0xaaab, v50
	s_delay_alu instid0(VALU_DEP_2) | instskip(NEXT) | instid1(VALU_DEP_2)
	v_mul_lo_u16 v25, v24, 3
	v_lshrrev_b32_e32 v113, 17, v18
	s_delay_alu instid0(VALU_DEP_2) | instskip(NEXT) | instid1(VALU_DEP_2)
	v_sub_nc_u16 v18, v47, v25
	v_mul_lo_u16 v25, v113, 3
	s_delay_alu instid0(VALU_DEP_2) | instskip(NEXT) | instid1(VALU_DEP_2)
	v_and_b32_e32 v114, 0xffff, v18
	v_sub_nc_u16 v18, v48, v25
	v_mul_lo_u16 v25, 0xab, v51
	s_delay_alu instid0(VALU_DEP_3) | instskip(NEXT) | instid1(VALU_DEP_2)
	v_lshlrev_b32_e32 v26, 4, v114
	v_lshrrev_b16 v116, 9, v25
	global_load_b128 v[88:91], v26, s[4:5]
	v_and_b32_e32 v115, 0xffff, v18
	v_mul_lo_u16 v25, v116, 3
	s_delay_alu instid0(VALU_DEP_2)
	v_lshlrev_b32_e32 v18, 4, v115
	global_load_b128 v[92:95], v18, s[4:5]
	v_and_b32_e32 v53, 0xff, v46
	v_and_b32_e32 v55, 0xff, v0
	;; [unrolled: 1-line block ×3, first 2 shown]
	v_sub_nc_u16 v18, v64, v25
	s_delay_alu instid0(VALU_DEP_4) | instskip(NEXT) | instid1(VALU_DEP_4)
	v_mul_lo_u16 v26, 0xab, v53
	v_mul_lo_u16 v29, 0xab, v55
	s_delay_alu instid0(VALU_DEP_4) | instskip(NEXT) | instid1(VALU_DEP_4)
	v_mul_lo_u16 v35, 0xab, v57
	v_and_b32_e32 v119, 0xff, v18
	s_delay_alu instid0(VALU_DEP_4)
	v_lshrrev_b16 v117, 9, v26
	ds_load_2addr_b32 v[25:26], v74 offset0:114 offset1:177
	v_lshrrev_b16 v118, 9, v29
	v_lshrrev_b16 v120, 9, v35
	ds_load_2addr_b32 v[29:30], v40 offset0:104 offset1:167
	v_mul_lo_u16 v18, v117, 3
	v_mul_lo_u16 v35, v118, 3
	;; [unrolled: 1-line block ×3, first 2 shown]
	s_delay_alu instid0(VALU_DEP_3) | instskip(NEXT) | instid1(VALU_DEP_3)
	v_sub_nc_u16 v18, v46, v18
	v_sub_nc_u16 v63, v0, v35
	s_delay_alu instid0(VALU_DEP_2) | instskip(NEXT) | instid1(VALU_DEP_4)
	v_and_b32_e32 v121, 0xff, v18
	v_sub_nc_u16 v18, v54, v58
	s_delay_alu instid0(VALU_DEP_3) | instskip(SKIP_1) | instid1(VALU_DEP_3)
	v_and_b32_e32 v122, 0xff, v63
	s_waitcnt lgkmcnt(1)
	v_dual_mul_f32 v63, v26, v60 :: v_dual_lshlrev_b32 v58, 4, v121
	v_fmac_f32_e32 v66, v26, v59
	s_waitcnt lgkmcnt(0)
	v_mul_f32_e32 v60, v29, v62
	global_load_b128 v[100:103], v58, s[4:5]
	v_fma_f32 v67, v71, v59, -v63
	v_dual_mul_f32 v71, v111, v81 :: v_dual_lshlrev_b32 v36, 4, v119
	v_mul_f32_e32 v58, v104, v62
	v_fma_f32 v79, v104, v61, -v60
	v_mul_f32_e32 v62, v30, v83
	global_load_b128 v[96:99], v36, s[4:5]
	ds_load_2addr_b32 v[35:36], v77 offset0:112 offset1:175
	v_dual_fmac_f32 v58, v29, v61 :: v_dual_and_b32 v123, 0xff, v18
	v_mul_f32_e32 v61, v105, v83
	v_fma_f32 v60, v105, v82, -v62
	v_mul_f32_e32 v62, v19, v87
	s_delay_alu instid0(VALU_DEP_3)
	v_dual_fmac_f32 v61, v30, v82 :: v_dual_lshlrev_b32 v26, 4, v123
	global_load_b128 v[104:107], v26, s[4:5]
	s_waitcnt lgkmcnt(0)
	v_mul_f32_e32 v29, v35, v81
	v_fmac_f32_e32 v71, v35, v80
	v_fmac_f32_e32 v78, v36, v84
	s_delay_alu instid0(VALU_DEP_3) | instskip(SKIP_3) | instid1(VALU_DEP_1)
	v_fma_f32 v63, v111, v80, -v29
	ds_load_2addr_b32 v[29:30], v75 offset0:106 offset1:169
	s_waitcnt vmcnt(4)
	v_dual_mul_f32 v81, v70, v89 :: v_dual_lshlrev_b32 v18, 4, v122
	v_fmac_f32_e32 v81, v25, v88
	global_load_b128 v[108:111], v18, s[4:5]
	ds_load_b32 v18, v1 offset:6552
	v_mul_f32_e32 v26, v36, v85
	ds_load_2addr_b32 v[35:36], v42 offset0:116 offset1:179
	s_waitcnt vmcnt(4)
	v_mul_f32_e32 v82, v68, v95
	v_fma_f32 v59, v112, v84, -v26
	v_mul_f32_e32 v84, v34, v93
	s_waitcnt lgkmcnt(1)
	v_mul_f32_e32 v26, v18, v87
	v_fmac_f32_e32 v62, v18, v86
	v_mul_f32_e32 v18, v25, v89
	s_delay_alu instid0(VALU_DEP_3) | instskip(SKIP_1) | instid1(VALU_DEP_3)
	v_fma_f32 v65, v19, v86, -v26
	v_mul_f32_e32 v19, v29, v95
	v_fma_f32 v80, v70, v88, -v18
	v_mul_f32_e32 v18, v30, v91
	ds_load_2addr_b32 v[86:87], v72 offset0:108 offset1:171
	v_mul_f32_e32 v70, v69, v91
	ds_load_2addr_b32 v[25:26], v73 offset0:118 offset1:181
	v_fma_f32 v68, v68, v94, -v19
	v_fma_f32 v69, v69, v90, -v18
	s_waitcnt lgkmcnt(2)
	v_mul_f32_e32 v18, v36, v93
	v_fmac_f32_e32 v70, v30, v90
	s_delay_alu instid0(VALU_DEP_2)
	v_fma_f32 v83, v34, v92, -v18
	ds_load_2addr_b32 v[18:19], v52 offset0:120 offset1:183
	s_waitcnt vmcnt(3)
	v_dual_mul_f32 v93, v31, v103 :: v_dual_and_b32 v34, 0xffff, v118
	v_mul_f32_e32 v95, v28, v101
	s_waitcnt vmcnt(2)
	v_mul_f32_e32 v85, v33, v97
	v_fmac_f32_e32 v82, v29, v94
	ds_load_2addr_b32 v[29:30], v56 offset0:110 offset1:173
	v_dual_mul_f32 v88, v35, v97 :: v_dual_mul_f32 v91, v32, v99
	v_fmac_f32_e32 v85, v35, v96
	v_fmac_f32_e32 v84, v36, v92
	s_waitcnt lgkmcnt(3)
	v_mul_f32_e32 v36, v87, v99
	v_fma_f32 v90, v33, v96, -v88
	v_mul_u32_u24_e32 v33, 36, v34
	s_waitcnt lgkmcnt(2)
	v_dual_fmac_f32 v95, v26, v100 :: v_dual_lshlrev_b32 v34, 2, v122
	v_fma_f32 v92, v32, v98, -v36
	s_waitcnt vmcnt(1)
	v_dual_mul_f32 v32, v86, v103 :: v_dual_mul_f32 v97, v27, v105
	v_mul_f32_e32 v94, v26, v101
	v_dual_fmac_f32 v93, v86, v102 :: v_dual_mul_f32 v26, v25, v105
	v_fmac_f32_e32 v91, v87, v98
	s_delay_alu instid0(VALU_DEP_4) | instskip(NEXT) | instid1(VALU_DEP_4)
	v_fmac_f32_e32 v97, v25, v104
	v_fma_f32 v94, v28, v100, -v94
	v_add3_u32 v87, 0, v33, v34
	v_fma_f32 v98, v27, v104, -v26
	s_waitcnt lgkmcnt(0)
	v_mul_f32_e32 v26, v30, v107
	v_fma_f32 v96, v31, v102, -v32
	ds_load_2addr_b32 v[88:89], v1 offset1:63
	ds_load_2addr_b32 v[35:36], v1 offset0:126 offset1:189
	ds_load_2addr_b32 v[33:34], v38 offset0:124 offset1:187
	;; [unrolled: 1-line block ×3, first 2 shown]
	s_waitcnt vmcnt(0) lgkmcnt(0)
	s_barrier
	buffer_gl0_inv
	v_mul_f32_e32 v99, v22, v107
	s_delay_alu instid0(VALU_DEP_1) | instskip(SKIP_1) | instid1(VALU_DEP_2)
	v_dual_fmac_f32 v99, v30, v106 :: v_dual_mul_f32 v86, v19, v109
	v_mul_f32_e32 v28, v29, v111
	v_fma_f32 v25, v5, v108, -v86
	s_delay_alu instid0(VALU_DEP_2)
	v_fma_f32 v27, v21, v110, -v28
	v_mul_f32_e32 v21, v21, v111
	v_mul_f32_e32 v5, v5, v109
	v_fma_f32 v100, v22, v106, -v26
	v_add_f32_e32 v22, v13, v25
	v_add_f32_e32 v26, v25, v27
	;; [unrolled: 1-line block ×3, first 2 shown]
	v_fmac_f32_e32 v5, v19, v108
	s_delay_alu instid0(VALU_DEP_4)
	v_dual_add_f32 v19, v22, v27 :: v_dual_and_b32 v22, 0xffff, v120
	v_fmac_f32_e32 v21, v29, v110
	v_add_f32_e32 v29, v14, v98
	v_fma_f32 v13, -0.5, v26, v13
	v_add_f32_e32 v26, v98, v100
	v_mul_u32_u24_e32 v22, 36, v22
	v_sub_f32_e32 v28, v5, v21
	v_lshlrev_b32_e32 v30, 2, v123
	v_sub_f32_e32 v110, v25, v27
	v_fmac_f32_e32 v14, -0.5, v26
	v_sub_f32_e32 v26, v97, v99
	v_fmamk_f32 v86, v28, 0x3f5db3d7, v13
	v_fmac_f32_e32 v13, 0xbf5db3d7, v28
	v_add3_u32 v101, 0, v22, v30
	v_add_f32_e32 v22, v29, v100
	v_add_f32_e32 v97, v89, v97
	ds_store_2addr_b32 v87, v19, v86 offset1:3
	v_and_b32_e32 v19, 0xffff, v117
	v_fmamk_f32 v28, v26, 0x3f5db3d7, v14
	ds_store_b32 v87, v13 offset:24
	ds_store_2addr_b32 v101, v22, v28 offset1:3
	v_mul_u32_u24_e32 v19, 36, v19
	v_dual_add_f32 v13, v94, v96 :: v_dual_lshlrev_b32 v22, 2, v121
	v_fmac_f32_e32 v14, 0xbf5db3d7, v26
	v_add_f32_e32 v26, v8, v94
	v_lshlrev_b32_e32 v28, 2, v119
	s_delay_alu instid0(VALU_DEP_4) | instskip(SKIP_4) | instid1(VALU_DEP_4)
	v_add3_u32 v102, 0, v19, v22
	v_and_b32_e32 v19, 0xffff, v116
	v_fma_f32 v8, -0.5, v13, v8
	v_sub_f32_e32 v13, v95, v93
	v_dual_fmac_f32 v89, -0.5, v111 :: v_dual_sub_f32 v94, v94, v96
	v_mul_u32_u24_e32 v19, 36, v19
	v_sub_f32_e32 v98, v98, v100
	s_delay_alu instid0(VALU_DEP_4) | instskip(SKIP_1) | instid1(VALU_DEP_4)
	v_fmamk_f32 v22, v13, 0x3f5db3d7, v8
	v_dual_fmac_f32 v8, 0xbf5db3d7, v13 :: v_dual_add_f32 v13, v9, v90
	v_add3_u32 v103, 0, v19, v28
	v_lshlrev_b32_e32 v19, 2, v115
	ds_store_b32 v101, v14 offset:24
	v_add_f32_e32 v14, v26, v96
	v_add_f32_e32 v26, v90, v92
	ds_store_2addr_b32 v102, v14, v22 offset1:3
	ds_store_b32 v102, v8 offset:24
	v_dual_fmac_f32 v9, -0.5, v26 :: v_dual_sub_f32 v26, v85, v91
	v_mul_u32_u24_e32 v14, 36, v113
	v_add_f32_e32 v8, v13, v92
	v_sub_f32_e32 v90, v90, v92
	s_delay_alu instid0(VALU_DEP_4) | instskip(NEXT) | instid1(VALU_DEP_4)
	v_fmamk_f32 v13, v26, 0x3f5db3d7, v9
	v_add3_u32 v104, 0, v14, v19
	v_mul_u32_u24_e32 v14, 36, v24
	v_lshlrev_b32_e32 v19, 2, v114
	v_dual_fmac_f32 v9, 0xbf5db3d7, v26 :: v_dual_add_f32 v26, v83, v68
	ds_store_2addr_b32 v103, v8, v13 offset1:3
	ds_store_b32 v103, v9 offset:24
	v_add_f32_e32 v13, v80, v69
	v_add3_u32 v105, 0, v14, v19
	v_dual_sub_f32 v14, v81, v70 :: v_dual_lshlrev_b32 v19, 2, v23
	v_add_f32_e32 v22, v6, v83
	v_fma_f32 v6, -0.5, v26, v6
	v_sub_f32_e32 v9, v84, v82
	s_delay_alu instid0(VALU_DEP_4) | instskip(NEXT) | instid1(VALU_DEP_4)
	v_add3_u32 v106, 0, v11, v19
	v_add_f32_e32 v8, v22, v68
	v_dual_add_f32 v22, v7, v80 :: v_dual_fmac_f32 v7, -0.5, v13
	s_delay_alu instid0(VALU_DEP_4) | instskip(NEXT) | instid1(VALU_DEP_2)
	v_dual_add_f32 v13, v67, v79 :: v_dual_fmamk_f32 v24, v9, 0x3f5db3d7, v6
	v_fmamk_f32 v23, v14, 0x3f5db3d7, v7
	s_delay_alu instid0(VALU_DEP_2)
	v_fma_f32 v13, -0.5, v13, v16
	v_fmac_f32_e32 v6, 0xbf5db3d7, v9
	v_dual_add_f32 v9, v22, v69 :: v_dual_add_f32 v22, v16, v67
	v_sub_f32_e32 v16, v66, v58
	v_fmac_f32_e32 v7, 0xbf5db3d7, v14
	v_sub_f32_e32 v69, v80, v69
	v_sub_f32_e32 v67, v67, v79
	s_delay_alu instid0(VALU_DEP_4)
	v_dual_add_f32 v11, v22, v79 :: v_dual_fmamk_f32 v14, v16, 0x3f5db3d7, v13
	v_fmac_f32_e32 v13, 0xbf5db3d7, v16
	ds_store_2addr_b32 v104, v8, v24 offset1:3
	ds_store_b32 v104, v6 offset:24
	ds_store_2addr_b32 v105, v9, v23 offset1:3
	ds_store_b32 v105, v7 offset:24
	ds_store_2addr_b32 v106, v11, v14 offset1:3
	v_dual_add_f32 v6, v63, v60 :: v_dual_add_f32 v11, v4, v59
	v_mul_u32_u24_e32 v7, 36, v20
	v_add_f32_e32 v9, v17, v63
	ds_store_b32 v106, v13 offset:24
	v_dual_fmac_f32 v17, -0.5, v6 :: v_dual_sub_f32 v6, v71, v61
	v_lshlrev_b32_e32 v8, 2, v15
	s_delay_alu instid0(VALU_DEP_1) | instskip(SKIP_1) | instid1(VALU_DEP_4)
	v_add3_u32 v107, 0, v7, v8
	v_dual_add_f32 v8, v59, v65 :: v_dual_add_f32 v7, v9, v60
	v_dual_fmamk_f32 v9, v6, 0x3f5db3d7, v17 :: v_dual_sub_f32 v60, v63, v60
	s_delay_alu instid0(VALU_DEP_2)
	v_dual_add_f32 v63, v18, v78 :: v_dual_fmac_f32 v4, -0.5, v8
	v_sub_f32_e32 v8, v78, v62
	ds_store_2addr_b32 v107, v7, v9 offset1:3
	v_sub_f32_e32 v59, v59, v65
	v_fmamk_f32 v7, v8, 0x3f5db3d7, v4
	v_fmac_f32_e32 v4, 0xbf5db3d7, v8
	v_add_f32_e32 v8, v88, v5
	v_dual_add_f32 v5, v5, v21 :: v_dual_lshlrev_b32 v12, 2, v12
	v_dual_fmac_f32 v17, 0xbf5db3d7, v6 :: v_dual_add_f32 v6, v11, v65
	s_delay_alu instid0(VALU_DEP_3) | instskip(NEXT) | instid1(VALU_DEP_3)
	v_add_f32_e32 v109, v8, v21
	v_fma_f32 v88, -0.5, v5, v88
	s_delay_alu instid0(VALU_DEP_4)
	v_add3_u32 v108, 0, v10, v12
	ds_store_b32 v107, v17 offset:24
	ds_store_2addr_b32 v108, v6, v7 offset1:3
	ds_store_b32 v108, v4 offset:24
	v_fmamk_f32 v112, v110, 0xbf5db3d7, v88
	v_fmac_f32_e32 v88, 0x3f5db3d7, v110
	s_waitcnt lgkmcnt(0)
	s_barrier
	buffer_gl0_inv
	ds_load_b32 v86, v1 offset:6552
	ds_load_2addr_b32 v[12:13], v1 offset1:63
	ds_load_2addr_b32 v[4:5], v52 offset0:120 offset1:183
	ds_load_2addr_b32 v[14:15], v56 offset0:110 offset1:173
	;; [unrolled: 1-line block ×12, first 2 shown]
	s_waitcnt lgkmcnt(0)
	s_barrier
	buffer_gl0_inv
	ds_store_2addr_b32 v87, v109, v112 offset1:3
	ds_store_b32 v87, v88 offset:24
	v_add_f32_e32 v87, v97, v99
	v_add_f32_e32 v97, v95, v93
	;; [unrolled: 1-line block ×3, first 2 shown]
	s_delay_alu instid0(VALU_DEP_2) | instskip(NEXT) | instid1(VALU_DEP_1)
	v_fma_f32 v35, -0.5, v97, v35
	v_dual_add_f32 v92, v95, v93 :: v_dual_fmamk_f32 v93, v94, 0xbf5db3d7, v35
	v_fmac_f32_e32 v35, 0x3f5db3d7, v94
	v_fmamk_f32 v88, v98, 0xbf5db3d7, v89
	v_dual_fmac_f32 v89, 0x3f5db3d7, v98 :: v_dual_add_f32 v98, v85, v91
	s_delay_alu instid0(VALU_DEP_1) | instskip(NEXT) | instid1(VALU_DEP_1)
	v_dual_add_f32 v85, v36, v85 :: v_dual_fmac_f32 v36, -0.5, v98
	v_add_f32_e32 v85, v85, v91
	s_delay_alu instid0(VALU_DEP_2)
	v_fmamk_f32 v91, v90, 0xbf5db3d7, v36
	ds_store_2addr_b32 v101, v87, v88 offset1:3
	ds_store_b32 v101, v89 offset:24
	ds_store_2addr_b32 v102, v92, v93 offset1:3
	ds_store_b32 v102, v35 offset:24
	ds_store_2addr_b32 v103, v85, v91 offset1:3
	v_add_f32_e32 v35, v84, v82
	v_add_f32_e32 v85, v81, v70
	v_dual_add_f32 v81, v34, v81 :: v_dual_add_f32 v84, v33, v84
	s_delay_alu instid0(VALU_DEP_3) | instskip(NEXT) | instid1(VALU_DEP_3)
	v_fma_f32 v33, -0.5, v35, v33
	v_fmac_f32_e32 v34, -0.5, v85
	s_delay_alu instid0(VALU_DEP_3) | instskip(NEXT) | instid1(VALU_DEP_4)
	v_dual_sub_f32 v68, v83, v68 :: v_dual_add_f32 v35, v84, v82
	v_add_f32_e32 v70, v81, v70
	s_delay_alu instid0(VALU_DEP_3) | instskip(SKIP_1) | instid1(VALU_DEP_4)
	v_fmamk_f32 v81, v69, 0xbf5db3d7, v34
	v_fmac_f32_e32 v36, 0x3f5db3d7, v90
	v_fmamk_f32 v80, v68, 0xbf5db3d7, v33
	v_dual_fmac_f32 v33, 0x3f5db3d7, v68 :: v_dual_add_f32 v68, v66, v58
	v_add_f32_e32 v66, v31, v66
	v_fmac_f32_e32 v34, 0x3f5db3d7, v69
	ds_store_b32 v103, v36 offset:24
	v_fma_f32 v31, -0.5, v68, v31
	v_add_f32_e32 v58, v66, v58
	v_add_f32_e32 v66, v71, v61
	s_delay_alu instid0(VALU_DEP_3) | instskip(NEXT) | instid1(VALU_DEP_2)
	v_dual_add_f32 v68, v32, v71 :: v_dual_fmamk_f32 v69, v67, 0xbf5db3d7, v31
	v_dual_fmac_f32 v31, 0x3f5db3d7, v67 :: v_dual_fmac_f32 v32, -0.5, v66
	v_mul_u32_u24_e32 v66, 0xe38f, v49
	v_add_f32_e32 v67, v78, v62
	ds_store_2addr_b32 v104, v35, v80 offset1:3
	ds_store_b32 v104, v33 offset:24
	ds_store_2addr_b32 v105, v70, v81 offset1:3
	v_fmamk_f32 v65, v60, 0xbf5db3d7, v32
	v_fmac_f32_e32 v32, 0x3f5db3d7, v60
	v_add_f32_e32 v60, v63, v62
	v_mul_u32_u24_e32 v62, 0xe38f, v43
	v_lshrrev_b32_e32 v83, 19, v66
	v_fmac_f32_e32 v18, -0.5, v67
	ds_store_b32 v105, v34 offset:24
	ds_store_2addr_b32 v106, v58, v69 offset1:3
	ds_store_b32 v106, v31 offset:24
	v_lshrrev_b32_e32 v91, 19, v62
	v_mul_lo_u16 v63, v83, 9
	v_dual_add_f32 v61, v68, v61 :: v_dual_fmamk_f32 v36, v59, 0xbf5db3d7, v18
	v_fmac_f32_e32 v18, 0x3f5db3d7, v59
	s_delay_alu instid0(VALU_DEP_4) | instskip(NEXT) | instid1(VALU_DEP_4)
	v_mul_lo_u16 v35, v91, 9
	v_sub_nc_u16 v33, v47, v63
	ds_store_2addr_b32 v107, v61, v65 offset1:3
	ds_store_b32 v107, v32 offset:24
	ds_store_2addr_b32 v108, v60, v36 offset1:3
	v_mul_u32_u24_e32 v36, 0xe38f, v50
	ds_store_b32 v108, v18 offset:24
	v_sub_nc_u16 v31, v37, v35
	v_and_b32_e32 v93, 0xffff, v33
	s_waitcnt lgkmcnt(0)
	s_barrier
	buffer_gl0_inv
	v_and_b32_e32 v94, 0xffff, v31
	v_lshlrev_b32_e32 v32, 4, v93
	v_lshrrev_b32_e32 v117, 19, v36
	v_mul_lo_u16 v36, v51, 57
	v_mul_lo_u16 v59, v53, 57
	v_lshlrev_b32_e32 v18, 4, v94
	s_clause 0x1
	global_load_b128 v[31:34], v32, s[4:5] offset:48
	global_load_b128 v[79:82], v18, s[4:5] offset:48
	v_mul_u32_u24_e32 v18, 0xe38f, v41
	v_mul_lo_u16 v58, v117, 9
	ds_load_2addr_b32 v[66:67], v40 offset0:104 offset1:167
	v_lshrrev_b16 v118, 9, v36
	v_mul_lo_u16 v36, v57, 57
	v_lshrrev_b32_e32 v18, 19, v18
	v_sub_nc_u16 v58, v48, v58
	v_lshrrev_b16 v120, 9, v59
	ds_load_2addr_b32 v[84:85], v75 offset0:106 offset1:169
	v_lshrrev_b16 v121, 9, v36
	v_mul_lo_u16 v35, v18, 9
	v_and_b32_e32 v122, 0xffff, v58
	v_mul_lo_u16 v59, v120, 9
	s_delay_alu instid0(VALU_DEP_4) | instskip(NEXT) | instid1(VALU_DEP_4)
	v_mul_lo_u16 v62, v121, 9
	v_sub_nc_u16 v35, v39, v35
	s_delay_alu instid0(VALU_DEP_4) | instskip(NEXT) | instid1(VALU_DEP_4)
	v_lshlrev_b32_e32 v61, 4, v122
	v_sub_nc_u16 v59, v46, v59
	s_delay_alu instid0(VALU_DEP_3) | instskip(SKIP_4) | instid1(VALU_DEP_1)
	v_and_b32_e32 v92, 0xffff, v35
	global_load_b128 v[101:104], v61, s[4:5] offset:48
	v_lshlrev_b32_e32 v35, 4, v92
	global_load_b128 v[87:90], v35, s[4:5] offset:48
	v_mul_u32_u24_e32 v35, 0xe38f, v45
	v_lshrrev_b32_e32 v95, 19, v35
	s_delay_alu instid0(VALU_DEP_1) | instskip(NEXT) | instid1(VALU_DEP_1)
	v_mul_lo_u16 v35, v95, 9
	v_sub_nc_u16 v35, v44, v35
	s_delay_alu instid0(VALU_DEP_1) | instskip(NEXT) | instid1(VALU_DEP_1)
	v_and_b32_e32 v96, 0xffff, v35
	v_lshlrev_b32_e32 v35, 4, v96
	global_load_b128 v[97:100], v35, s[4:5] offset:48
	v_mul_lo_u16 v35, v55, 57
	v_and_b32_e32 v124, 0xff, v59
	s_delay_alu instid0(VALU_DEP_2) | instskip(SKIP_1) | instid1(VALU_DEP_2)
	v_lshrrev_b16 v119, 9, v35
	v_mul_lo_u16 v35, v118, 9
	v_mul_lo_u16 v58, v119, 9
	s_delay_alu instid0(VALU_DEP_2) | instskip(SKIP_4) | instid1(VALU_DEP_2)
	v_sub_nc_u16 v60, v64, v35
	ds_load_2addr_b32 v[35:36], v74 offset0:114 offset1:177
	v_sub_nc_u16 v58, v0, v58
	v_and_b32_e32 v123, 0xff, v60
	v_sub_nc_u16 v60, v54, v62
	v_lshlrev_b32_e32 v59, 4, v123
	global_load_b128 v[105:108], v59, s[4:5] offset:48
	s_waitcnt vmcnt(5)
	v_mul_f32_e32 v78, v29, v32
	v_and_b32_e32 v125, 0xff, v60
	v_dual_mul_f32 v63, v17, v34 :: v_dual_lshlrev_b32 v60, 4, v124
	s_waitcnt vmcnt(4)
	v_dual_mul_f32 v61, v30, v80 :: v_dual_mul_f32 v62, v27, v82
	global_load_b128 v[109:112], v60, s[4:5] offset:48
	s_waitcnt lgkmcnt(0)
	v_dual_mul_f32 v59, v35, v32 :: v_dual_mul_f32 v32, v85, v34
	v_mul_f32_e32 v34, v36, v80
	v_dual_fmac_f32 v61, v36, v79 :: v_dual_fmac_f32 v62, v66, v81
	v_fmac_f32_e32 v63, v85, v33
	s_delay_alu instid0(VALU_DEP_4) | instskip(SKIP_2) | instid1(VALU_DEP_2)
	v_fma_f32 v71, v17, v33, -v32
	v_mul_f32_e32 v17, v66, v82
	v_fma_f32 v68, v29, v31, -v59
	v_fma_f32 v65, v27, v81, -v17
	s_waitcnt vmcnt(3)
	v_mul_f32_e32 v17, v67, v90
	v_mul_f32_e32 v36, v28, v90
	s_delay_alu instid0(VALU_DEP_2) | instskip(SKIP_4) | instid1(VALU_DEP_1)
	v_fma_f32 v66, v28, v89, -v17
	ds_load_2addr_b32 v[27:28], v77 offset0:112 offset1:175
	v_fmac_f32_e32 v36, v67, v89
	s_waitcnt lgkmcnt(0)
	v_mul_f32_e32 v17, v27, v88
	v_fma_f32 v69, v25, v87, -v17
	ds_load_b32 v17, v1 offset:6552
	s_waitcnt vmcnt(2)
	v_mul_f32_e32 v67, v26, v98
	s_delay_alu instid0(VALU_DEP_1) | instskip(NEXT) | instid1(VALU_DEP_1)
	v_dual_fmac_f32 v67, v28, v97 :: v_dual_and_b32 v126, 0xff, v58
	v_dual_fmac_f32 v78, v35, v31 :: v_dual_lshlrev_b32 v33, 4, v126
	v_dual_mul_f32 v35, v86, v100 :: v_dual_lshlrev_b32 v58, 4, v125
	global_load_b128 v[113:116], v33, s[4:5] offset:48
	s_waitcnt lgkmcnt(0)
	v_fmac_f32_e32 v35, v17, v99
	v_fma_f32 v59, v30, v79, -v34
	global_load_b128 v[29:32], v58, s[4:5] offset:48
	v_mul_f32_e32 v79, v16, v104
	v_dual_mul_f32 v70, v25, v88 :: v_dual_mul_f32 v25, v28, v98
	ds_load_2addr_b32 v[33:34], v42 offset0:116 offset1:179
	v_fmac_f32_e32 v79, v84, v103
	v_fmac_f32_e32 v70, v27, v87
	v_fma_f32 v58, v26, v97, -v25
	v_mul_f32_e32 v25, v17, v100
	ds_load_2addr_b32 v[27:28], v73 offset0:118 offset1:181
	v_mul_f32_e32 v17, v84, v104
	ds_load_2addr_b32 v[97:98], v56 offset0:110 offset1:173
	v_mul_f32_e32 v82, v24, v102
	v_fma_f32 v60, v86, v99, -v25
	ds_load_2addr_b32 v[25:26], v72 offset0:108 offset1:171
	v_fma_f32 v80, v16, v103, -v17
	ds_load_2addr_b32 v[16:17], v52 offset0:120 offset1:183
	s_waitcnt vmcnt(3)
	v_mul_f32_e32 v86, v23, v106
	s_waitcnt lgkmcnt(4)
	v_mul_f32_e32 v84, v33, v106
	s_delay_alu instid0(VALU_DEP_2) | instskip(NEXT) | instid1(VALU_DEP_2)
	v_dual_mul_f32 v81, v34, v102 :: v_dual_fmac_f32 v86, v33, v105
	v_fma_f32 v85, v23, v105, -v84
	s_delay_alu instid0(VALU_DEP_2)
	v_fma_f32 v81, v24, v101, -v81
	v_mul_f32_e32 v84, v22, v108
	s_waitcnt lgkmcnt(1)
	v_mul_f32_e32 v24, v26, v108
	s_waitcnt vmcnt(2)
	v_mul_f32_e32 v23, v25, v112
	v_dual_mul_f32 v88, v21, v112 :: v_dual_mul_f32 v33, v28, v110
	s_delay_alu instid0(VALU_DEP_2) | instskip(NEXT) | instid1(VALU_DEP_2)
	v_fma_f32 v89, v21, v111, -v23
	v_fma_f32 v90, v20, v109, -v33
	s_waitcnt vmcnt(0)
	v_mul_f32_e32 v21, v27, v30
	v_mul_f32_e32 v102, v19, v30
	v_fma_f32 v87, v22, v107, -v24
	s_delay_alu instid0(VALU_DEP_3) | instskip(SKIP_4) | instid1(VALU_DEP_3)
	v_fma_f32 v103, v19, v29, -v21
	v_mul_f32_e32 v19, v98, v32
	v_dual_fmac_f32 v82, v34, v101 :: v_dual_mul_f32 v101, v20, v110
	s_waitcnt lgkmcnt(0)
	v_dual_mul_f32 v21, v17, v114 :: v_dual_fmac_f32 v84, v26, v107
	v_fma_f32 v105, v15, v31, -v19
	s_delay_alu instid0(VALU_DEP_3) | instskip(NEXT) | instid1(VALU_DEP_1)
	v_dual_mul_f32 v20, v97, v116 :: v_dual_fmac_f32 v101, v28, v109
	v_fma_f32 v19, v14, v115, -v20
	s_delay_alu instid0(VALU_DEP_4) | instskip(SKIP_1) | instid1(VALU_DEP_2)
	v_fma_f32 v20, v5, v113, -v21
	v_mul_f32_e32 v5, v5, v114
	v_dual_add_f32 v22, v12, v20 :: v_dual_lshlrev_b32 v21, 2, v126
	v_dual_mul_f32 v104, v15, v32 :: v_dual_and_b32 v15, 0xffff, v119
	v_add_f32_e32 v23, v20, v19
	v_fmac_f32_e32 v88, v25, v111
	v_fmac_f32_e32 v5, v17, v113
	v_and_b32_e32 v17, 0xffff, v121
	v_fmac_f32_e32 v102, v27, v29
	v_mul_u32_u24_e32 v15, 0x6c, v15
	v_fma_f32 v12, -0.5, v23, v12
	v_dual_add_f32 v23, v13, v103 :: v_dual_mul_f32 v14, v14, v116
	v_mul_u32_u24_e32 v17, 0x6c, v17
	v_lshlrev_b32_e32 v24, 2, v125
	v_add3_u32 v106, 0, v15, v21
	v_add_f32_e32 v15, v22, v19
	v_dual_add_f32 v21, v103, v105 :: v_dual_fmac_f32 v104, v98, v31
	s_delay_alu instid0(VALU_DEP_4) | instskip(SKIP_1) | instid1(VALU_DEP_3)
	v_add3_u32 v107, 0, v17, v24
	v_dual_add_f32 v17, v23, v105 :: v_dual_fmac_f32 v14, v97, v115
	v_fmac_f32_e32 v13, -0.5, v21
	s_delay_alu instid0(VALU_DEP_4)
	v_sub_f32_e32 v21, v102, v104
	ds_load_2addr_b32 v[97:98], v1 offset1:63
	ds_load_2addr_b32 v[99:100], v1 offset0:126 offset1:189
	ds_load_2addr_b32 v[33:34], v38 offset0:124 offset1:187
	;; [unrolled: 1-line block ×3, first 2 shown]
	s_waitcnt lgkmcnt(0)
	v_sub_f32_e32 v22, v5, v14
	s_barrier
	buffer_gl0_inv
	v_add_f32_e32 v111, v102, v104
	v_sub_f32_e32 v103, v103, v105
	v_fmamk_f32 v25, v22, 0x3f5db3d7, v12
	ds_store_2addr_b32 v106, v15, v25 offset1:9
	v_and_b32_e32 v15, 0xffff, v120
	v_fmac_f32_e32 v12, 0xbf5db3d7, v22
	v_fmamk_f32 v22, v21, 0x3f5db3d7, v13
	v_fmac_f32_e32 v13, 0xbf5db3d7, v21
	v_add_f32_e32 v21, v10, v90
	ds_store_b32 v106, v12 offset:72
	ds_store_2addr_b32 v107, v17, v22 offset1:9
	v_add_f32_e32 v12, v90, v89
	v_mul_u32_u24_e32 v15, 0x6c, v15
	v_lshlrev_b32_e32 v17, 2, v124
	ds_store_b32 v107, v13 offset:72
	v_lshlrev_b32_e32 v22, 2, v123
	v_add_f32_e32 v102, v98, v102
	v_fmac_f32_e32 v98, -0.5, v111
	v_add3_u32 v108, 0, v15, v17
	v_and_b32_e32 v15, 0xffff, v118
	v_fma_f32 v10, -0.5, v12, v10
	v_add_f32_e32 v13, v21, v89
	v_add_f32_e32 v21, v85, v87
	v_sub_f32_e32 v12, v101, v88
	v_mul_u32_u24_e32 v15, 0x6c, v15
	v_sub_f32_e32 v89, v90, v89
	s_delay_alu instid0(VALU_DEP_3)
	v_fmamk_f32 v17, v12, 0x3f5db3d7, v10
	v_fmac_f32_e32 v10, 0xbf5db3d7, v12
	v_add_f32_e32 v12, v11, v85
	v_fmac_f32_e32 v11, -0.5, v21
	v_sub_f32_e32 v21, v86, v84
	ds_store_2addr_b32 v108, v13, v17 offset1:9
	ds_store_b32 v108, v10 offset:72
	v_add3_u32 v109, 0, v15, v22
	v_add_f32_e32 v10, v12, v87
	v_mul_u32_u24_e32 v13, 0x6c, v117
	v_dual_fmamk_f32 v12, v21, 0x3f5db3d7, v11 :: v_dual_lshlrev_b32 v15, 2, v122
	v_fmac_f32_e32 v11, 0xbf5db3d7, v21
	v_add_f32_e32 v21, v81, v80
	ds_store_2addr_b32 v109, v10, v12 offset1:9
	ds_store_b32 v109, v11 offset:72
	v_add_f32_e32 v12, v68, v71
	v_sub_f32_e32 v11, v82, v79
	v_add_f32_e32 v17, v8, v81
	v_fma_f32 v8, -0.5, v21, v8
	v_add3_u32 v110, 0, v13, v15
	v_mul_u32_u24_e32 v13, 0x6c, v83
	v_dual_add_f32 v22, v6, v59 :: v_dual_lshlrev_b32 v15, 2, v93
	s_delay_alu instid0(VALU_DEP_4)
	v_fmamk_f32 v21, v11, 0x3f5db3d7, v8
	v_fmac_f32_e32 v8, 0xbf5db3d7, v11
	v_add_f32_e32 v10, v17, v80
	v_add_f32_e32 v17, v9, v68
	v_dual_fmac_f32 v9, -0.5, v12 :: v_dual_add_f32 v12, v59, v65
	v_add3_u32 v93, 0, v13, v15
	v_sub_f32_e32 v13, v78, v63
	v_mul_u32_u24_e32 v15, 0x6c, v91
	v_sub_f32_e32 v85, v85, v87
	v_fma_f32 v6, -0.5, v12, v6
	v_sub_f32_e32 v12, v61, v62
	v_add_f32_e32 v11, v17, v71
	v_lshlrev_b32_e32 v17, 2, v94
	v_fmamk_f32 v23, v13, 0x3f5db3d7, v9
	v_fmac_f32_e32 v9, 0xbf5db3d7, v13
	v_dual_add_f32 v13, v22, v65 :: v_dual_sub_f32 v80, v81, v80
	s_delay_alu instid0(VALU_DEP_4)
	v_add3_u32 v91, 0, v15, v17
	v_fmamk_f32 v15, v12, 0x3f5db3d7, v6
	v_fmac_f32_e32 v6, 0xbf5db3d7, v12
	ds_store_2addr_b32 v110, v10, v21 offset1:9
	ds_store_b32 v110, v8 offset:72
	ds_store_2addr_b32 v93, v11, v23 offset1:9
	ds_store_b32 v93, v9 offset:72
	ds_store_2addr_b32 v91, v13, v15 offset1:9
	v_mul_u32_u24_e32 v9, 0x6c, v18
	v_lshlrev_b32_e32 v10, 2, v92
	v_dual_add_f32 v8, v69, v66 :: v_dual_add_f32 v11, v7, v69
	ds_store_b32 v91, v6 offset:72
	v_lshlrev_b32_e32 v13, 2, v96
	v_add3_u32 v92, 0, v9, v10
	v_dual_add_f32 v9, v58, v60 :: v_dual_sub_f32 v96, v20, v19
	v_add_f32_e32 v6, v11, v66
	v_add_f32_e32 v11, v4, v58
	v_mul_u32_u24_e32 v12, 0x6c, v95
	s_delay_alu instid0(VALU_DEP_4)
	v_dual_fmac_f32 v4, -0.5, v9 :: v_dual_sub_f32 v9, v67, v35
	v_fmac_f32_e32 v7, -0.5, v8
	v_sub_f32_e32 v8, v70, v36
	v_sub_f32_e32 v68, v68, v71
	v_mul_u32_u24_e32 v81, 0x2f69, v49
	v_dual_sub_f32 v59, v59, v65 :: v_dual_sub_f32 v66, v69, v66
	s_delay_alu instid0(VALU_DEP_4)
	v_fmamk_f32 v10, v8, 0x3f5db3d7, v7
	v_fmac_f32_e32 v7, 0xbf5db3d7, v8
	v_fmamk_f32 v8, v9, 0x3f5db3d7, v4
	v_fmac_f32_e32 v4, 0xbf5db3d7, v9
	v_add_f32_e32 v9, v97, v5
	v_add_f32_e32 v5, v5, v14
	ds_store_2addr_b32 v92, v6, v10 offset1:9
	v_add_f32_e32 v6, v11, v60
	ds_store_b32 v92, v7 offset:72
	v_add_f32_e32 v65, v32, v70
	v_fma_f32 v97, -0.5, v5, v97
	s_delay_alu instid0(VALU_DEP_1)
	v_dual_sub_f32 v58, v58, v60 :: v_dual_fmamk_f32 v105, v96, 0xbf5db3d7, v97
	v_fmac_f32_e32 v97, 0x3f5db3d7, v96
	v_add_f32_e32 v96, v102, v104
	v_fmamk_f32 v102, v103, 0xbf5db3d7, v98
	v_add3_u32 v94, 0, v12, v13
	v_dual_fmac_f32 v98, 0x3f5db3d7, v103 :: v_dual_add_f32 v95, v9, v14
	ds_store_2addr_b32 v94, v6, v8 offset1:9
	ds_store_b32 v94, v4 offset:72
	s_waitcnt lgkmcnt(0)
	s_barrier
	buffer_gl0_inv
	ds_load_b32 v83, v1 offset:6552
	ds_load_2addr_b32 v[12:13], v1 offset1:63
	ds_load_2addr_b32 v[4:5], v52 offset0:120 offset1:183
	ds_load_2addr_b32 v[14:15], v56 offset0:110 offset1:173
	;; [unrolled: 1-line block ×12, first 2 shown]
	s_waitcnt lgkmcnt(0)
	s_barrier
	buffer_gl0_inv
	ds_store_2addr_b32 v106, v95, v105 offset1:9
	ds_store_b32 v106, v97 offset:72
	ds_store_2addr_b32 v107, v96, v102 offset1:9
	v_dual_add_f32 v97, v86, v84 :: v_dual_add_f32 v86, v100, v86
	v_add_f32_e32 v96, v99, v101
	ds_store_b32 v107, v98 offset:72
	v_dual_fmac_f32 v100, -0.5, v97 :: v_dual_add_f32 v95, v101, v88
	v_add_f32_e32 v84, v86, v84
	v_add_f32_e32 v88, v96, v88
	s_delay_alu instid0(VALU_DEP_3) | instskip(SKIP_3) | instid1(VALU_DEP_2)
	v_fmamk_f32 v86, v85, 0xbf5db3d7, v100
	v_fmac_f32_e32 v100, 0x3f5db3d7, v85
	v_fma_f32 v90, -0.5, v95, v99
	v_dual_add_f32 v85, v33, v82 :: v_dual_add_f32 v82, v82, v79
	v_fmamk_f32 v87, v89, 0xbf5db3d7, v90
	v_fmac_f32_e32 v90, 0x3f5db3d7, v89
	s_delay_alu instid0(VALU_DEP_3)
	v_fma_f32 v33, -0.5, v82, v33
	ds_store_2addr_b32 v108, v88, v87 offset1:9
	ds_store_b32 v108, v90 offset:72
	ds_store_2addr_b32 v109, v84, v86 offset1:9
	v_add_f32_e32 v84, v78, v63
	v_dual_add_f32 v78, v34, v78 :: v_dual_add_f32 v79, v85, v79
	v_fmamk_f32 v71, v80, 0xbf5db3d7, v33
	v_fmac_f32_e32 v33, 0x3f5db3d7, v80
	s_delay_alu instid0(VALU_DEP_3) | instskip(SKIP_2) | instid1(VALU_DEP_3)
	v_dual_fmac_f32 v34, -0.5, v84 :: v_dual_add_f32 v63, v78, v63
	v_lshrrev_b32_e32 v78, 16, v81
	v_dual_add_f32 v80, v31, v61 :: v_dual_add_f32 v61, v61, v62
	v_fmamk_f32 v81, v68, 0xbf5db3d7, v34
	v_fmac_f32_e32 v34, 0x3f5db3d7, v68
	s_delay_alu instid0(VALU_DEP_4) | instskip(NEXT) | instid1(VALU_DEP_4)
	v_sub_nc_u16 v68, v47, v78
	v_add_f32_e32 v62, v80, v62
	v_add_f32_e32 v80, v70, v36
	ds_store_b32 v109, v100 offset:72
	ds_store_2addr_b32 v110, v79, v71 offset1:9
	v_fmac_f32_e32 v32, -0.5, v80
	v_fma_f32 v61, -0.5, v61, v31
	v_lshrrev_b16 v31, 1, v68
	s_delay_alu instid0(VALU_DEP_2) | instskip(NEXT) | instid1(VALU_DEP_2)
	v_fmamk_f32 v68, v59, 0xbf5db3d7, v61
	v_add_nc_u16 v31, v31, v78
	v_dual_add_f32 v69, v67, v35 :: v_dual_add_f32 v36, v65, v36
	v_fmac_f32_e32 v61, 0x3f5db3d7, v59
	v_add_f32_e32 v59, v16, v67
	s_delay_alu instid0(VALU_DEP_4) | instskip(NEXT) | instid1(VALU_DEP_4)
	v_lshrrev_b16 v31, 4, v31
	v_fmac_f32_e32 v16, -0.5, v69
	v_fmamk_f32 v60, v66, 0xbf5db3d7, v32
	s_delay_alu instid0(VALU_DEP_4) | instskip(NEXT) | instid1(VALU_DEP_4)
	v_dual_fmac_f32 v32, 0x3f5db3d7, v66 :: v_dual_add_f32 v35, v59, v35
	v_mul_lo_u16 v65, v31, 27
	s_delay_alu instid0(VALU_DEP_4)
	v_fmamk_f32 v59, v58, 0xbf5db3d7, v16
	v_fmac_f32_e32 v16, 0x3f5db3d7, v58
	ds_store_b32 v110, v33 offset:72
	ds_store_2addr_b32 v93, v63, v81 offset1:9
	ds_store_b32 v93, v34 offset:72
	ds_store_2addr_b32 v91, v62, v68 offset1:9
	;; [unrolled: 2-line block ×4, first 2 shown]
	v_sub_nc_u16 v58, v47, v65
	v_mul_u32_u24_e32 v34, 0x2f69, v41
	ds_store_b32 v94, v16 offset:72
	s_waitcnt lgkmcnt(0)
	s_barrier
	buffer_gl0_inv
	ds_load_2addr_b32 v[68:69], v74 offset0:114 offset1:177
	v_and_b32_e32 v33, 0xffff, v58
	v_mul_u32_u24_e32 v16, 0x2f69, v43
	v_lshrrev_b32_e32 v34, 16, v34
	v_mul_u32_u24_e32 v36, 0x2f69, v45
	ds_load_2addr_b32 v[84:85], v75 offset0:106 offset1:169
	v_lshlrev_b32_e32 v32, 4, v33
	v_lshrrev_b32_e32 v16, 16, v16
	global_load_b128 v[58:61], v32, s[4:5] offset:192
	v_sub_nc_u16 v32, v37, v16
	s_delay_alu instid0(VALU_DEP_1) | instskip(NEXT) | instid1(VALU_DEP_1)
	v_lshrrev_b16 v32, 1, v32
	v_add_nc_u16 v16, v32, v16
	s_delay_alu instid0(VALU_DEP_1) | instskip(NEXT) | instid1(VALU_DEP_1)
	v_lshrrev_b16 v16, 4, v16
	v_mul_lo_u16 v32, v16, 27
	s_delay_alu instid0(VALU_DEP_1) | instskip(SKIP_1) | instid1(VALU_DEP_1)
	v_sub_nc_u16 v32, v37, v32
	s_waitcnt vmcnt(0)
	v_dual_mul_f32 v63, v27, v59 :: v_dual_and_b32 v32, 0xffff, v32
	s_delay_alu instid0(VALU_DEP_1) | instskip(SKIP_1) | instid1(VALU_DEP_2)
	v_lshlrev_b32_e32 v35, 4, v32
	s_waitcnt lgkmcnt(1)
	v_fmac_f32_e32 v63, v68, v58
	global_load_b128 v[78:81], v35, s[4:5] offset:192
	v_sub_nc_u16 v35, v39, v34
	s_delay_alu instid0(VALU_DEP_1) | instskip(NEXT) | instid1(VALU_DEP_1)
	v_lshrrev_b16 v35, 1, v35
	v_add_nc_u16 v34, v35, v34
	v_lshrrev_b32_e32 v35, 16, v36
	v_mul_u32_u24_e32 v36, 0x2f69, v50
	s_delay_alu instid0(VALU_DEP_3) | instskip(NEXT) | instid1(VALU_DEP_3)
	v_lshrrev_b16 v70, 4, v34
	v_sub_nc_u16 v34, v44, v35
	s_delay_alu instid0(VALU_DEP_3) | instskip(NEXT) | instid1(VALU_DEP_3)
	v_lshrrev_b32_e32 v36, 16, v36
	v_mul_lo_u16 v62, v70, 27
	s_delay_alu instid0(VALU_DEP_3) | instskip(NEXT) | instid1(VALU_DEP_2)
	v_lshrrev_b16 v34, 1, v34
	v_sub_nc_u16 v62, v39, v62
	s_delay_alu instid0(VALU_DEP_2) | instskip(SKIP_1) | instid1(VALU_DEP_3)
	v_add_nc_u16 v34, v34, v35
	v_sub_nc_u16 v35, v48, v36
	v_and_b32_e32 v82, 0xffff, v62
	s_delay_alu instid0(VALU_DEP_3) | instskip(NEXT) | instid1(VALU_DEP_3)
	v_lshrrev_b16 v71, 4, v34
	v_lshrrev_b16 v34, 1, v35
	s_delay_alu instid0(VALU_DEP_3) | instskip(NEXT) | instid1(VALU_DEP_3)
	v_lshlrev_b32_e32 v35, 4, v82
	v_mul_lo_u16 v62, v71, 27
	s_delay_alu instid0(VALU_DEP_3)
	v_add_nc_u16 v34, v34, v36
	v_mul_lo_u16 v36, v53, 19
	global_load_b128 v[87:90], v35, s[4:5] offset:192
	v_sub_nc_u16 v35, v44, v62
	v_lshrrev_b16 v115, 4, v34
	v_mul_lo_u16 v34, v51, 19
	v_lshrrev_b16 v118, 9, v36
	s_delay_alu instid0(VALU_DEP_4) | instskip(NEXT) | instid1(VALU_DEP_4)
	v_and_b32_e32 v86, 0xffff, v35
	v_mul_lo_u16 v35, v115, 27
	s_delay_alu instid0(VALU_DEP_4) | instskip(NEXT) | instid1(VALU_DEP_3)
	v_lshrrev_b16 v116, 9, v34
	v_lshlrev_b32_e32 v34, 4, v86
	s_delay_alu instid0(VALU_DEP_3) | instskip(NEXT) | instid1(VALU_DEP_3)
	v_sub_nc_u16 v35, v48, v35
	v_mul_lo_u16 v62, v116, 27
	global_load_b128 v[91:94], v34, s[4:5] offset:192
	v_and_b32_e32 v117, 0xffff, v35
	v_sub_nc_u16 v35, v64, v62
	s_delay_alu instid0(VALU_DEP_2)
	v_lshlrev_b32_e32 v36, 4, v117
	global_load_b128 v[95:98], v36, s[4:5] offset:192
	v_mul_lo_u16 v34, v57, 19
	v_mul_lo_u16 v57, v118, 27
	v_and_b32_e32 v120, 0xff, v35
	v_mul_lo_u16 v35, v55, 19
	s_delay_alu instid0(VALU_DEP_4) | instskip(NEXT) | instid1(VALU_DEP_4)
	v_lshrrev_b16 v119, 9, v34
	v_sub_nc_u16 v34, v46, v57
	s_delay_alu instid0(VALU_DEP_4) | instskip(NEXT) | instid1(VALU_DEP_4)
	v_lshlrev_b32_e32 v36, 4, v120
	v_lshrrev_b16 v122, 9, v35
	s_delay_alu instid0(VALU_DEP_4) | instskip(NEXT) | instid1(VALU_DEP_4)
	v_mul_lo_u16 v55, v119, 27
	v_and_b32_e32 v121, 0xff, v34
	global_load_b128 v[99:102], v36, s[4:5] offset:192
	v_sub_nc_u16 v34, v54, v55
	v_lshlrev_b32_e32 v35, 4, v121
	s_delay_alu instid0(VALU_DEP_2) | instskip(SKIP_3) | instid1(VALU_DEP_2)
	v_and_b32_e32 v123, 0xff, v34
	global_load_b128 v[103:106], v35, s[4:5] offset:192
	v_mul_lo_u16 v36, v122, 27
	v_lshlrev_b32_e32 v35, 4, v123
	v_sub_nc_u16 v34, v0, v36
	s_waitcnt lgkmcnt(0)
	v_mul_f32_e32 v36, v85, v61
	global_load_b128 v[107:110], v35, s[4:5] offset:192
	v_and_b32_e32 v124, 0xff, v34
	v_mul_f32_e32 v34, v68, v59
	v_fma_f32 v68, v24, v60, -v36
	s_delay_alu instid0(VALU_DEP_2)
	v_fma_f32 v66, v27, v58, -v34
	s_waitcnt vmcnt(6)
	v_mul_f32_e32 v58, v29, v81
	s_waitcnt vmcnt(5)
	v_mul_f32_e32 v59, v25, v88
	;; [unrolled: 2-line block ×3, first 2 shown]
	v_lshlrev_b32_e32 v55, 4, v124
	global_load_b128 v[111:114], v55, s[4:5] offset:192
	v_dual_mul_f32 v35, v24, v61 :: v_dual_mul_f32 v24, v69, v79
	ds_load_2addr_b32 v[61:62], v77 offset0:112 offset1:175
	v_dual_fmac_f32 v35, v85, v60 :: v_dual_mul_f32 v60, v28, v79
	v_fma_f32 v57, v28, v78, -v24
	ds_load_2addr_b32 v[27:28], v40 offset0:104 offset1:167
	v_fmac_f32_e32 v60, v69, v78
	s_waitcnt vmcnt(3)
	v_mul_f32_e32 v85, v20, v102
	s_waitcnt lgkmcnt(1)
	v_fmac_f32_e32 v59, v61, v87
	s_waitcnt lgkmcnt(0)
	v_dual_fmac_f32 v65, v62, v91 :: v_dual_mul_f32 v24, v27, v81
	v_fmac_f32_e32 v58, v27, v80
	v_dual_mul_f32 v27, v62, v92 :: v_dual_mul_f32 v62, v83, v94
	v_mul_f32_e32 v81, v22, v96
	s_delay_alu instid0(VALU_DEP_4)
	v_fma_f32 v67, v29, v80, -v24
	v_mul_f32_e32 v24, v28, v90
	ds_load_b32 v29, v1 offset:6552
	v_fma_f32 v36, v30, v89, -v24
	v_mul_f32_e32 v24, v61, v88
	v_fma_f32 v61, v26, v91, -v27
	ds_load_2addr_b32 v[26:27], v72 offset0:108 offset1:171
	s_waitcnt vmcnt(2)
	v_mul_f32_e32 v88, v19, v106
	v_fma_f32 v55, v25, v87, -v24
	ds_load_2addr_b32 v[24:25], v42 offset0:116 offset1:179
	v_mul_f32_e32 v34, v30, v90
	s_waitcnt lgkmcnt(2)
	v_fmac_f32_e32 v62, v29, v93
	s_waitcnt lgkmcnt(1)
	v_fmac_f32_e32 v85, v27, v101
	s_waitcnt lgkmcnt(0)
	v_dual_fmac_f32 v81, v25, v95 :: v_dual_fmac_f32 v34, v28, v89
	v_mul_f32_e32 v28, v29, v94
	s_delay_alu instid0(VALU_DEP_1)
	v_fma_f32 v69, v83, v93, -v28
	ds_load_2addr_b32 v[28:29], v73 offset0:118 offset1:181
	v_mul_f32_e32 v30, v84, v98
	ds_load_2addr_b32 v[92:93], v56 offset0:110 offset1:173
	v_mul_f32_e32 v78, v23, v98
	v_mul_f32_e32 v90, v18, v104
	v_fma_f32 v79, v23, v97, -v30
	v_mul_f32_e32 v23, v25, v96
	v_dual_mul_f32 v25, v26, v106 :: v_dual_mul_f32 v30, v24, v100
	s_delay_alu instid0(VALU_DEP_2) | instskip(SKIP_1) | instid1(VALU_DEP_3)
	v_fma_f32 v80, v22, v95, -v23
	v_mul_f32_e32 v23, v27, v102
	v_fma_f32 v89, v19, v105, -v25
	s_delay_alu instid0(VALU_DEP_2)
	v_fma_f32 v87, v20, v101, -v23
	s_waitcnt lgkmcnt(1)
	v_mul_f32_e32 v19, v29, v104
	s_waitcnt vmcnt(1) lgkmcnt(0)
	v_dual_mul_f32 v20, v28, v108 :: v_dual_mul_f32 v23, v93, v110
	v_fma_f32 v83, v21, v99, -v30
	s_delay_alu instid0(VALU_DEP_3) | instskip(NEXT) | instid1(VALU_DEP_3)
	v_fma_f32 v91, v18, v103, -v19
	v_fma_f32 v102, v15, v109, -v23
	s_waitcnt vmcnt(0)
	v_mul_f32_e32 v19, v14, v114
	v_fma_f32 v101, v17, v107, -v20
	s_delay_alu instid0(VALU_DEP_2)
	v_fmac_f32_e32 v19, v92, v113
	v_fmac_f32_e32 v78, v84, v97
	v_mul_f32_e32 v84, v21, v100
	ds_load_2addr_b32 v[21:22], v52 offset0:120 offset1:183
	v_dual_mul_f32 v100, v17, v108 :: v_dual_mul_f32 v17, v92, v114
	v_fmac_f32_e32 v84, v24, v99
	v_add_f32_e32 v24, v10, v91
	s_delay_alu instid0(VALU_DEP_3) | instskip(SKIP_2) | instid1(VALU_DEP_1)
	v_fma_f32 v14, v14, v113, -v17
	s_waitcnt lgkmcnt(0)
	v_mul_f32_e32 v18, v22, v112
	v_fma_f32 v17, v5, v111, -v18
	v_dual_mul_f32 v5, v5, v112 :: v_dual_fmac_f32 v88, v26, v105
	v_lshlrev_b32_e32 v18, 2, v124
	s_delay_alu instid0(VALU_DEP_3)
	v_add_f32_e32 v20, v12, v17
	v_dual_fmac_f32 v90, v29, v103 :: v_dual_mul_f32 v103, v15, v110
	v_and_b32_e32 v15, 0xffff, v122
	v_add_f32_e32 v23, v17, v14
	v_fmac_f32_e32 v5, v22, v111
	v_and_b32_e32 v22, 0xffff, v119
	v_fmac_f32_e32 v100, v28, v107
	v_mul_u32_u24_e32 v15, 0x144, v15
	v_fma_f32 v12, -0.5, v23, v12
	v_fmac_f32_e32 v103, v93, v109
	ds_load_2addr_b32 v[92:93], v1 offset1:63
	ds_load_2addr_b32 v[94:95], v1 offset0:126 offset1:189
	ds_load_2addr_b32 v[96:97], v38 offset0:124 offset1:187
	;; [unrolled: 1-line block ×3, first 2 shown]
	s_waitcnt lgkmcnt(0)
	v_add3_u32 v104, 0, v15, v18
	v_dual_sub_f32 v18, v5, v19 :: v_dual_add_f32 v15, v20, v14
	s_barrier
	buffer_gl0_inv
	v_dual_add_f32 v23, v13, v101 :: v_dual_fmamk_f32 v20, v18, 0x3f5db3d7, v12
	v_fmac_f32_e32 v12, 0xbf5db3d7, v18
	ds_store_2addr_b32 v104, v15, v20 offset1:27
	v_add_f32_e32 v15, v101, v102
	v_mul_u32_u24_e32 v20, 0x144, v22
	v_lshlrev_b32_e32 v22, 2, v123
	s_delay_alu instid0(VALU_DEP_3) | instskip(SKIP_1) | instid1(VALU_DEP_3)
	v_fmac_f32_e32 v13, -0.5, v15
	v_and_b32_e32 v15, 0xffff, v118
	v_add3_u32 v105, 0, v20, v22
	v_sub_f32_e32 v22, v100, v103
	v_add_f32_e32 v20, v91, v89
	v_add_f32_e32 v18, v23, v102
	v_mul_u32_u24_e32 v15, 0x144, v15
	v_lshlrev_b32_e32 v23, 2, v121
	v_fmamk_f32 v25, v22, 0x3f5db3d7, v13
	v_fmac_f32_e32 v13, 0xbf5db3d7, v22
	v_fma_f32 v10, -0.5, v20, v10
	v_sub_f32_e32 v20, v90, v88
	v_add3_u32 v106, 0, v15, v23
	v_add_f32_e32 v15, v24, v89
	ds_store_b32 v104, v12 offset:216
	ds_store_2addr_b32 v105, v18, v25 offset1:27
	ds_store_b32 v105, v13 offset:216
	v_and_b32_e32 v12, 0xffff, v116
	v_dual_fmamk_f32 v22, v20, 0x3f5db3d7, v10 :: v_dual_add_f32 v13, v83, v87
	v_dual_sub_f32 v89, v91, v89 :: v_dual_lshlrev_b32 v18, 2, v120
	s_delay_alu instid0(VALU_DEP_3)
	v_mul_u32_u24_e32 v12, 0x144, v12
	ds_store_2addr_b32 v106, v15, v22 offset1:27
	v_add_f32_e32 v15, v11, v83
	v_fmac_f32_e32 v11, -0.5, v13
	v_dual_sub_f32 v13, v84, v85 :: v_dual_fmac_f32 v10, 0xbf5db3d7, v20
	v_add3_u32 v107, 0, v12, v18
	s_delay_alu instid0(VALU_DEP_4) | instskip(NEXT) | instid1(VALU_DEP_3)
	v_add_f32_e32 v12, v15, v87
	v_dual_add_f32 v18, v8, v80 :: v_dual_fmamk_f32 v15, v13, 0x3f5db3d7, v11
	ds_store_b32 v106, v10 offset:216
	v_fmac_f32_e32 v11, 0xbf5db3d7, v13
	v_lshlrev_b32_e32 v13, 2, v117
	ds_store_2addr_b32 v107, v12, v15 offset1:27
	v_dual_add_f32 v15, v9, v66 :: v_dual_add_f32 v12, v80, v79
	ds_store_b32 v107, v11 offset:216
	v_and_b32_e32 v11, 0xffff, v31
	v_fma_f32 v8, -0.5, v12, v8
	v_add_f32_e32 v12, v66, v68
	v_and_b32_e32 v10, 0xffff, v115
	s_delay_alu instid0(VALU_DEP_4) | instskip(NEXT) | instid1(VALU_DEP_3)
	v_mul_u32_u24_e32 v11, 0x144, v11
	v_fmac_f32_e32 v9, -0.5, v12
	s_delay_alu instid0(VALU_DEP_3) | instskip(SKIP_1) | instid1(VALU_DEP_2)
	v_mul_u32_u24_e32 v10, 0x144, v10
	v_sub_f32_e32 v12, v63, v35
	v_add3_u32 v108, 0, v10, v13
	v_dual_add_f32 v10, v18, v79 :: v_dual_sub_f32 v13, v81, v78
	v_dual_sub_f32 v79, v80, v79 :: v_dual_lshlrev_b32 v18, 2, v33
	s_delay_alu instid0(VALU_DEP_2)
	v_fmamk_f32 v20, v13, 0x3f5db3d7, v8
	v_fmac_f32_e32 v8, 0xbf5db3d7, v13
	v_fmamk_f32 v13, v12, 0x3f5db3d7, v9
	v_fmac_f32_e32 v9, 0xbf5db3d7, v12
	v_add3_u32 v109, 0, v11, v18
	v_add_f32_e32 v11, v15, v68
	v_and_b32_e32 v15, 0xffff, v16
	ds_store_2addr_b32 v108, v10, v20 offset1:27
	ds_store_b32 v108, v8 offset:216
	ds_store_b32 v109, v9 offset:216
	v_dual_add_f32 v9, v55, v36 :: v_dual_add_f32 v8, v57, v67
	ds_store_2addr_b32 v109, v11, v13 offset1:27
	v_mul_u32_u24_e32 v10, 0x144, v15
	v_lshlrev_b32_e32 v11, 2, v32
	v_add_f32_e32 v13, v6, v57
	v_fma_f32 v6, -0.5, v8, v6
	v_dual_sub_f32 v8, v60, v58 :: v_dual_sub_f32 v57, v57, v67
	s_delay_alu instid0(VALU_DEP_4) | instskip(NEXT) | instid1(VALU_DEP_4)
	v_add3_u32 v110, 0, v10, v11
	v_dual_add_f32 v11, v13, v67 :: v_dual_and_b32 v10, 0xffff, v70
	s_delay_alu instid0(VALU_DEP_3)
	v_fmamk_f32 v12, v8, 0x3f5db3d7, v6
	v_fmac_f32_e32 v6, 0xbf5db3d7, v8
	v_dual_add_f32 v8, v7, v55 :: v_dual_fmac_f32 v7, -0.5, v9
	v_sub_f32_e32 v9, v59, v34
	v_lshlrev_b32_e32 v13, 2, v82
	ds_store_2addr_b32 v110, v11, v12 offset1:27
	v_dual_add_f32 v12, v4, v61 :: v_dual_fmamk_f32 v11, v9, 0x3f5db3d7, v7
	v_fmac_f32_e32 v7, 0xbf5db3d7, v9
	v_add_f32_e32 v9, v92, v5
	v_mul_u32_u24_e32 v10, 0x144, v10
	v_dual_add_f32 v8, v8, v36 :: v_dual_add_f32 v5, v5, v19
	v_dual_sub_f32 v36, v55, v36 :: v_dual_add_f32 v55, v21, v65
	s_delay_alu instid0(VALU_DEP_3)
	v_add3_u32 v70, 0, v10, v13
	v_lshlrev_b32_e32 v13, 2, v86
	ds_store_b32 v110, v6 offset:216
	v_and_b32_e32 v6, 0xffff, v71
	v_add_f32_e32 v86, v100, v103
	v_add_f32_e32 v10, v61, v69
	;; [unrolled: 1-line block ×3, first 2 shown]
	ds_store_2addr_b32 v70, v8, v11 offset1:27
	v_mul_u32_u24_e32 v6, 0x144, v6
	v_fmac_f32_e32 v93, -0.5, v86
	v_fmac_f32_e32 v4, -0.5, v10
	v_sub_f32_e32 v10, v65, v62
	v_sub_f32_e32 v86, v101, v102
	v_add3_u32 v71, 0, v6, v13
	v_add_f32_e32 v6, v12, v69
	ds_store_b32 v70, v7 offset:216
	v_fmamk_f32 v8, v10, 0x3f5db3d7, v4
	v_fma_f32 v82, -0.5, v5, v92
	v_fmac_f32_e32 v4, 0xbf5db3d7, v10
	ds_store_2addr_b32 v71, v6, v8 offset1:27
	v_add_f32_e32 v8, v9, v19
	v_sub_f32_e32 v9, v17, v14
	ds_store_b32 v71, v4 offset:216
	s_waitcnt lgkmcnt(0)
	s_barrier
	buffer_gl0_inv
	v_fmamk_f32 v92, v9, 0xbf5db3d7, v82
	ds_load_2addr_b32 v[15:16], v1 offset1:63
	ds_load_b32 v10, v1 offset:6552
	ds_load_2addr_b32 v[4:5], v52 offset0:120 offset1:183
	ds_load_2addr_b32 v[32:33], v56 offset0:110 offset1:173
	;; [unrolled: 1-line block ×12, first 2 shown]
	s_waitcnt lgkmcnt(0)
	s_barrier
	buffer_gl0_inv
	v_fmac_f32_e32 v82, 0x3f5db3d7, v9
	ds_store_2addr_b32 v104, v8, v92 offset1:27
	v_add_f32_e32 v8, v100, v103
	v_fmamk_f32 v92, v86, 0xbf5db3d7, v93
	v_add_f32_e32 v9, v90, v88
	ds_store_b32 v104, v82 offset:216
	v_add_f32_e32 v82, v94, v90
	v_fmac_f32_e32 v93, 0x3f5db3d7, v86
	ds_store_2addr_b32 v105, v8, v92 offset1:27
	v_add_f32_e32 v8, v84, v85
	v_fma_f32 v9, -0.5, v9, v94
	v_add_f32_e32 v84, v95, v84
	v_add_f32_e32 v82, v82, v88
	s_delay_alu instid0(VALU_DEP_4) | instskip(NEXT) | instid1(VALU_DEP_4)
	v_dual_fmac_f32 v95, -0.5, v8 :: v_dual_sub_f32 v8, v83, v87
	v_fmamk_f32 v86, v89, 0xbf5db3d7, v9
	v_fmac_f32_e32 v9, 0x3f5db3d7, v89
	ds_store_b32 v105, v93 offset:216
	ds_store_2addr_b32 v106, v82, v86 offset1:27
	ds_store_b32 v106, v9 offset:216
	v_fmamk_f32 v82, v8, 0xbf5db3d7, v95
	v_dual_fmac_f32 v95, 0x3f5db3d7, v8 :: v_dual_add_f32 v8, v63, v35
	v_add_f32_e32 v83, v81, v78
	v_add_f32_e32 v81, v96, v81
	;; [unrolled: 1-line block ×3, first 2 shown]
	s_delay_alu instid0(VALU_DEP_4) | instskip(SKIP_4) | instid1(VALU_DEP_4)
	v_fmac_f32_e32 v97, -0.5, v8
	v_sub_f32_e32 v8, v66, v68
	v_add_f32_e32 v68, v60, v58
	v_add_f32_e32 v60, v98, v60
	v_dual_add_f32 v78, v81, v78 :: v_dual_add_f32 v35, v63, v35
	v_fmamk_f32 v67, v8, 0xbf5db3d7, v97
	s_delay_alu instid0(VALU_DEP_3) | instskip(SKIP_3) | instid1(VALU_DEP_3)
	v_dual_fmac_f32 v97, 0x3f5db3d7, v8 :: v_dual_add_f32 v8, v60, v58
	v_add_f32_e32 v58, v59, v34
	v_add_f32_e32 v59, v99, v59
	v_fma_f32 v80, -0.5, v83, v96
	v_fmac_f32_e32 v99, -0.5, v58
	s_delay_alu instid0(VALU_DEP_2) | instskip(NEXT) | instid1(VALU_DEP_4)
	v_dual_add_f32 v9, v84, v85 :: v_dual_fmamk_f32 v66, v79, 0xbf5db3d7, v80
	v_add_f32_e32 v34, v59, v34
	s_delay_alu instid0(VALU_DEP_3) | instskip(SKIP_3) | instid1(VALU_DEP_2)
	v_fmamk_f32 v58, v36, 0xbf5db3d7, v99
	v_fmac_f32_e32 v99, 0x3f5db3d7, v36
	v_fma_f32 v63, -0.5, v68, v98
	v_add_f32_e32 v36, v55, v62
	v_fmamk_f32 v60, v57, 0xbf5db3d7, v63
	v_fmac_f32_e32 v63, 0x3f5db3d7, v57
	v_add_f32_e32 v57, v65, v62
	s_delay_alu instid0(VALU_DEP_1) | instskip(SKIP_1) | instid1(VALU_DEP_1)
	v_fmac_f32_e32 v21, -0.5, v57
	v_dual_sub_f32 v57, v61, v69 :: v_dual_fmac_f32 v80, 0x3f5db3d7, v79
	v_fmamk_f32 v55, v57, 0xbf5db3d7, v21
	v_fmac_f32_e32 v21, 0x3f5db3d7, v57
	ds_store_2addr_b32 v107, v9, v82 offset1:27
	ds_store_b32 v107, v95 offset:216
	ds_store_2addr_b32 v108, v78, v66 offset1:27
	ds_store_b32 v108, v80 offset:216
	;; [unrolled: 2-line block ×3, first 2 shown]
	v_subrev_nc_u32_e32 v35, 18, v0
	ds_store_2addr_b32 v110, v8, v60 offset1:27
	ds_store_b32 v110, v63 offset:216
	v_dual_mov_b32 v9, 0 :: v_dual_lshlrev_b32 v8, 1, v0
	ds_store_2addr_b32 v70, v34, v58 offset1:27
	ds_store_b32 v70, v99 offset:216
	ds_store_2addr_b32 v71, v36, v55 offset1:27
	v_cndmask_b32_e64 v54, v35, v54, s0
	ds_store_b32 v71, v21 offset:216
	s_waitcnt lgkmcnt(0)
	v_lshlrev_b64 v[34:35], 3, v[8:9]
	s_barrier
	buffer_gl0_inv
	v_mul_lo_u16 v21, 0xcb, v53
	v_mul_lo_u16 v36, 0xcb, v51
	v_add_co_u32 v34, s0, s4, v34
	s_delay_alu instid0(VALU_DEP_1) | instskip(NEXT) | instid1(VALU_DEP_4)
	v_add_co_ci_u32_e64 v35, s0, s5, v35, s0
	v_lshrrev_b16 v21, 14, v21
	s_delay_alu instid0(VALU_DEP_4) | instskip(SKIP_3) | instid1(VALU_DEP_2)
	v_lshrrev_b16 v36, 14, v36
	global_load_b128 v[57:60], v[34:35], off offset:624
	v_lshlrev_b32_e32 v8, 1, v54
	v_mul_lo_u16 v53, 0x51, v21
	v_lshlrev_b64 v[8:9], 3, v[8:9]
	s_delay_alu instid0(VALU_DEP_1) | instskip(NEXT) | instid1(VALU_DEP_1)
	v_add_co_u32 v8, s0, s4, v8
	v_add_co_ci_u32_e64 v9, s0, s5, v9, s0
	v_cmp_lt_u32_e64 s0, 17, v0
	global_load_b128 v[65:68], v[8:9], off offset:624
	v_sub_nc_u16 v34, v46, v53
	v_mul_u32_u24_e32 v35, 0x6523, v50
	v_mul_lo_u16 v8, 0x51, v36
	s_delay_alu instid0(VALU_DEP_3) | instskip(NEXT) | instid1(VALU_DEP_3)
	v_and_b32_e32 v115, 0xff, v34
	v_lshrrev_b32_e32 v9, 21, v35
	v_mul_u32_u24_e32 v34, 0x6523, v49
	s_delay_alu instid0(VALU_DEP_4) | instskip(NEXT) | instid1(VALU_DEP_4)
	v_sub_nc_u16 v8, v64, v8
	v_lshlrev_b32_e32 v35, 4, v115
	s_delay_alu instid0(VALU_DEP_4) | instskip(NEXT) | instid1(VALU_DEP_4)
	v_mul_lo_u16 v9, 0x51, v9
	v_lshrrev_b32_e32 v116, 21, v34
	s_delay_alu instid0(VALU_DEP_4)
	v_and_b32_e32 v117, 0xff, v8
	global_load_b128 v[91:94], v35, s[4:5] offset:624
	v_sub_nc_u16 v8, v48, v9
	v_mul_lo_u16 v9, 0x51, v116
	v_lshlrev_b32_e32 v34, 4, v117
	v_mul_u32_u24_e32 v35, 0x6523, v43
	s_delay_alu instid0(VALU_DEP_1)
	v_lshrrev_b32_e32 v119, 21, v35
	s_waitcnt vmcnt(2)
	v_dual_mul_f32 v87, v5, v58 :: v_dual_and_b32 v118, 0xffff, v8
	v_sub_nc_u16 v8, v47, v9
	global_load_b128 v[47:50], v34, s[4:5] offset:624
	v_mul_f32_e32 v63, v32, v60
	v_lshlrev_b32_e32 v9, 4, v118
	v_and_b32_e32 v120, 0xffff, v8
	v_mul_u32_u24_e32 v8, 0x6523, v41
	global_load_b128 v[95:98], v9, s[4:5] offset:624
	v_lshrrev_b32_e32 v121, 21, v8
	v_mul_u32_u24_e32 v8, 0x6523, v45
	s_delay_alu instid0(VALU_DEP_1) | instskip(NEXT) | instid1(VALU_DEP_1)
	v_lshrrev_b32_e32 v8, 21, v8
	v_mul_lo_u16 v8, 0x51, v8
	s_delay_alu instid0(VALU_DEP_1) | instskip(NEXT) | instid1(VALU_DEP_1)
	v_sub_nc_u16 v8, v44, v8
	v_and_b32_e32 v122, 0xffff, v8
	s_waitcnt vmcnt(2)
	v_dual_mul_f32 v83, v31, v92 :: v_dual_mul_f32 v82, v28, v94
	s_delay_alu instid0(VALU_DEP_2)
	v_lshlrev_b32_e32 v8, 4, v122
	global_load_b128 v[111:114], v8, s[4:5] offset:624
	v_lshlrev_b32_e32 v9, 4, v120
	global_load_b128 v[99:102], v9, s[4:5] offset:624
	v_mul_lo_u16 v34, 0x51, v119
	v_mul_lo_u16 v9, 0x51, v121
	s_delay_alu instid0(VALU_DEP_2) | instskip(NEXT) | instid1(VALU_DEP_2)
	v_sub_nc_u16 v34, v37, v34
	v_sub_nc_u16 v9, v39, v9
	s_delay_alu instid0(VALU_DEP_2) | instskip(NEXT) | instid1(VALU_DEP_2)
	v_and_b32_e32 v37, 0xffff, v34
	v_and_b32_e32 v39, 0xffff, v9
	s_delay_alu instid0(VALU_DEP_2) | instskip(NEXT) | instid1(VALU_DEP_2)
	v_lshlrev_b32_e32 v34, 4, v37
	v_lshlrev_b32_e32 v9, 4, v39
	s_clause 0x1
	global_load_b128 v[103:106], v34, s[4:5] offset:624
	global_load_b128 v[107:110], v9, s[4:5] offset:624
	ds_load_2addr_b32 v[8:9], v52 offset0:120 offset1:183
	ds_load_2addr_b32 v[34:35], v56 offset0:110 offset1:173
	;; [unrolled: 1-line block ×4, first 2 shown]
	v_mul_f32_e32 v88, v30, v66
	s_waitcnt lgkmcnt(3)
	v_mul_f32_e32 v41, v9, v58
	s_waitcnt lgkmcnt(2)
	v_mul_f32_e32 v45, v34, v60
	v_mul_f32_e32 v51, v35, v68
	s_waitcnt lgkmcnt(1)
	v_dual_mul_f32 v68, v33, v68 :: v_dual_fmac_f32 v83, v44, v91
	v_fma_f32 v89, v5, v57, -v41
	ds_load_2addr_b32 v[41:42], v42 offset0:116 offset1:179
	v_mul_f32_e32 v5, v43, v66
	v_fma_f32 v90, v32, v59, -v45
	v_fma_f32 v78, v33, v67, -v51
	ds_load_2addr_b32 v[32:33], v75 offset0:106 offset1:169
	v_fmac_f32_e32 v87, v9, v57
	v_fma_f32 v81, v30, v65, -v5
	v_dual_mul_f32 v5, v44, v92 :: v_dual_fmac_f32 v68, v35, v67
	s_waitcnt lgkmcnt(2)
	v_dual_mul_f32 v9, v61, v94 :: v_dual_fmac_f32 v88, v43, v65
	v_fmac_f32_e32 v82, v61, v93
	s_delay_alu instid0(VALU_DEP_3)
	v_fma_f32 v84, v31, v91, -v5
	ds_load_2addr_b32 v[30:31], v74 offset0:114 offset1:177
	v_fma_f32 v85, v28, v93, -v9
	v_lshl_add_u32 v93, v118, 2, 0
	v_fmac_f32_e32 v63, v34, v59
	ds_load_2addr_b32 v[34:35], v1 offset0:126 offset1:189
	s_waitcnt vmcnt(5)
	v_dual_mul_f32 v79, v26, v48 :: v_dual_add_nc_u32 v94, 0xa00, v93
	v_mul_f32_e32 v5, v62, v50
	v_mul_f32_e32 v57, v29, v50
	s_waitcnt lgkmcnt(3)
	s_delay_alu instid0(VALU_DEP_3) | instskip(NEXT) | instid1(VALU_DEP_3)
	v_fmac_f32_e32 v79, v41, v47
	v_fma_f32 v55, v29, v49, -v5
	ds_load_2addr_b32 v[28:29], v40 offset0:104 offset1:167
	s_waitcnt vmcnt(4)
	v_mul_f32_e32 v5, v42, v96
	v_mul_f32_e32 v9, v41, v48
	;; [unrolled: 1-line block ×3, first 2 shown]
	ds_load_2addr_b32 v[40:41], v1 offset1:63
	s_waitcnt vmcnt(3)
	v_mul_f32_e32 v58, v18, v112
	v_mul_f32_e32 v71, v10, v114
	s_waitcnt vmcnt(2)
	v_mul_f32_e32 v69, v22, v100
	v_mul_f32_e32 v45, v25, v102
	s_waitcnt vmcnt(0)
	v_dual_mul_f32 v59, v23, v104 :: v_dual_mul_f32 v44, v20, v110
	v_fma_f32 v65, v27, v95, -v5
	s_waitcnt lgkmcnt(4)
	v_mul_f32_e32 v5, v32, v98
	v_mul_f32_e32 v61, v27, v96
	s_waitcnt lgkmcnt(1)
	v_dual_mul_f32 v51, v19, v106 :: v_dual_fmac_f32 v44, v29, v109
	s_delay_alu instid0(VALU_DEP_3) | instskip(SKIP_2) | instid1(VALU_DEP_2)
	v_fma_f32 v80, v24, v97, -v5
	v_dual_mul_f32 v5, v30, v100 :: v_dual_add_f32 v24, v16, v81
	v_fmac_f32_e32 v61, v42, v95
	v_fma_f32 v50, v22, v99, -v5
	v_mul_f32_e32 v22, v28, v106
	v_fma_f32 v60, v26, v47, -v9
	v_mul_f32_e32 v9, v33, v102
	ds_load_2addr_b32 v[26:27], v77 offset0:112 offset1:175
	v_mul_f32_e32 v5, v31, v104
	v_fmac_f32_e32 v57, v62, v49
	v_fma_f32 v70, v19, v105, -v22
	v_fma_f32 v47, v25, v101, -v9
	ds_load_b32 v9, v1 offset:6552
	v_fma_f32 v62, v23, v103, -v5
	v_mul_f32_e32 v5, v29, v110
	v_cndmask_b32_e64 v22, 0, 0x3cc, s0
	v_mul_f32_e32 v49, v17, v108
	v_cmp_gt_u32_e64 s0, 54, v0
	s_delay_alu instid0(VALU_DEP_4) | instskip(SKIP_1) | instid1(VALU_DEP_1)
	v_fma_f32 v48, v20, v109, -v5
	v_add_f32_e32 v20, v81, v78
	v_fmac_f32_e32 v16, -0.5, v20
	v_sub_f32_e32 v20, v88, v68
	s_waitcnt lgkmcnt(1)
	v_mul_f32_e32 v5, v27, v112
	v_dual_mul_f32 v19, v26, v108 :: v_dual_fmac_f32 v58, v27, v111
	v_fmac_f32_e32 v45, v33, v101
	s_delay_alu instid0(VALU_DEP_3)
	v_fma_f32 v53, v18, v111, -v5
	s_waitcnt lgkmcnt(0)
	v_mul_f32_e32 v5, v9, v114
	v_fmac_f32_e32 v71, v9, v113
	v_dual_add_f32 v18, v15, v89 :: v_dual_lshlrev_b32 v23, 2, v54
	v_fma_f32 v17, v17, v107, -v19
	s_delay_alu instid0(VALU_DEP_4) | instskip(SKIP_1) | instid1(VALU_DEP_4)
	v_fma_f32 v86, v10, v113, -v5
	v_add_f32_e32 v5, v89, v90
	v_add_f32_e32 v18, v18, v90
	v_add3_u32 v54, 0, v22, v23
	v_fmamk_f32 v23, v20, 0x3f5db3d7, v16
	v_fmac_f32_e32 v16, 0xbf5db3d7, v20
	v_fma_f32 v5, -0.5, v5, v15
	v_sub_f32_e32 v15, v87, v63
	v_fmac_f32_e32 v67, v32, v97
	ds_load_2addr_b32 v[42:43], v38 offset0:124 offset1:187
	ds_load_2addr_b32 v[9:10], v76 offset0:122 offset1:185
	s_waitcnt lgkmcnt(0)
	s_barrier
	v_fmamk_f32 v19, v15, 0x3f5db3d7, v5
	v_fmac_f32_e32 v5, 0xbf5db3d7, v15
	buffer_gl0_inv
	v_add_f32_e32 v15, v84, v85
	ds_store_2addr_b32 v1, v18, v19 offset1:81
	ds_store_b32 v1, v5 offset:648
	v_dual_add_f32 v18, v60, v55 :: v_dual_and_b32 v19, 0xffff, v21
	v_add_f32_e32 v22, v24, v78
	v_fma_f32 v5, -0.5, v15, v11
	v_sub_f32_e32 v15, v83, v82
	s_delay_alu instid0(VALU_DEP_4)
	v_dual_add_f32 v21, v12, v60 :: v_dual_fmac_f32 v12, -0.5, v18
	v_add_f32_e32 v11, v11, v84
	v_mul_u32_u24_e32 v18, 0x3cc, v19
	v_lshlrev_b32_e32 v19, 2, v115
	ds_store_2addr_b32 v54, v22, v23 offset1:81
	v_fmamk_f32 v20, v15, 0x3f5db3d7, v5
	v_dual_fmac_f32 v69, v30, v99 :: v_dual_sub_f32 v22, v79, v57
	v_add_f32_e32 v11, v11, v85
	v_add3_u32 v91, 0, v18, v19
	v_fmac_f32_e32 v5, 0xbf5db3d7, v15
	ds_store_b32 v54, v16 offset:648
	v_fmamk_f32 v15, v22, 0x3f5db3d7, v12
	v_and_b32_e32 v16, 0xffff, v36
	v_dual_fmac_f32 v12, 0xbf5db3d7, v22 :: v_dual_fmac_f32 v59, v31, v103
	v_add_f32_e32 v18, v65, v80
	ds_store_2addr_b32 v91, v11, v20 offset1:81
	v_add_f32_e32 v11, v50, v47
	v_dual_fmac_f32 v51, v28, v105 :: v_dual_add_f32 v20, v14, v50
	v_mul_u32_u24_e32 v16, 0x3cc, v16
	v_lshlrev_b32_e32 v19, 2, v117
	v_fma_f32 v18, -0.5, v18, v13
	v_fmac_f32_e32 v14, -0.5, v11
	v_sub_f32_e32 v11, v61, v67
	ds_store_b32 v91, v5 offset:648
	v_add_f32_e32 v5, v13, v65
	v_add3_u32 v92, 0, v16, v19
	v_dual_add_f32 v16, v21, v55 :: v_dual_add_f32 v19, v62, v70
	v_fmamk_f32 v13, v11, 0x3f5db3d7, v18
	s_delay_alu instid0(VALU_DEP_4)
	v_dual_add_f32 v5, v5, v80 :: v_dual_fmac_f32 v18, 0xbf5db3d7, v11
	ds_store_2addr_b32 v92, v16, v15 offset1:81
	v_sub_f32_e32 v15, v69, v45
	v_fma_f32 v16, -0.5, v19, v6
	ds_store_b32 v92, v12 offset:648
	v_dual_add_f32 v11, v17, v48 :: v_dual_sub_f32 v12, v59, v51
	v_fmac_f32_e32 v49, v26, v107
	ds_store_2addr_b32 v94, v5, v13 offset0:89 offset1:170
	v_add_f32_e32 v5, v7, v17
	v_fmamk_f32 v13, v15, 0x3f5db3d7, v14
	v_fmac_f32_e32 v7, -0.5, v11
	v_fmac_f32_e32 v14, 0xbf5db3d7, v15
	v_fmamk_f32 v15, v12, 0x3f5db3d7, v16
	v_fmac_f32_e32 v16, 0xbf5db3d7, v12
	v_sub_f32_e32 v19, v49, v44
	v_add_f32_e32 v11, v5, v48
	v_add_f32_e32 v5, v53, v86
	v_mul_u32_u24_e32 v21, 0x3cc, v116
	v_lshlrev_b32_e32 v22, 2, v120
	v_fmamk_f32 v12, v19, 0x3f5db3d7, v7
	v_fmac_f32_e32 v7, 0xbf5db3d7, v19
	v_add_f32_e32 v19, v4, v53
	v_dual_fmac_f32 v4, -0.5, v5 :: v_dual_add_f32 v5, v6, v62
	v_add3_u32 v95, 0, v21, v22
	v_mul_u32_u24_e32 v6, 0x3cc, v119
	v_lshlrev_b32_e32 v21, 2, v37
	ds_store_b32 v93, v18 offset:3564
	v_add_f32_e32 v22, v5, v70
	v_add_f32_e32 v5, v19, v86
	v_mul_u32_u24_e32 v18, 0x3cc, v121
	v_lshlrev_b32_e32 v19, 2, v39
	v_add_f32_e32 v20, v20, v47
	v_add3_u32 v96, 0, v6, v21
	v_sub_f32_e32 v6, v58, v71
	v_lshl_add_u32 v97, v122, 2, 0
	v_add3_u32 v98, 0, v18, v19
	ds_store_2addr_b32 v95, v20, v13 offset1:81
	ds_store_b32 v95, v14 offset:648
	v_fmamk_f32 v13, v6, 0x3f5db3d7, v4
	v_add_nc_u32_e32 v99, 0x1600, v97
	v_fmac_f32_e32 v4, 0xbf5db3d7, v6
	ds_store_2addr_b32 v96, v22, v15 offset1:81
	ds_store_b32 v96, v16 offset:648
	ds_store_2addr_b32 v98, v11, v12 offset1:81
	ds_store_b32 v98, v7 offset:648
	ds_store_2addr_b32 v99, v5, v13 offset0:50 offset1:131
	ds_store_b32 v97, v4 offset:6480
	s_waitcnt lgkmcnt(0)
	s_barrier
	buffer_gl0_inv
	ds_load_2addr_b32 v[18:19], v1 offset1:63
	ds_load_2addr_b32 v[20:21], v1 offset0:126 offset1:243
	ds_load_b32 v66, v1 offset:6336
	ds_load_2addr_b32 v[22:23], v52 offset0:102 offset1:165
	ds_load_2addr_b32 v[36:37], v73 offset0:100 offset1:217
	;; [unrolled: 1-line block ×8, first 2 shown]
                                        ; implicit-def: $vgpr6
	s_and_saveexec_b32 s1, s0
	s_cbranch_execz .LBB0_13
; %bb.12:
	v_add_nc_u32_e32 v4, 0xa80, v1
	v_add_nc_u32_e32 v7, 0x2e0, v1
	ds_load_2addr_b32 v[4:5], v4 offset0:3 offset1:246
	ds_load_2addr_b32 v[13:14], v72 offset0:9 offset1:252
	ds_load_b32 v6, v1 offset:6588
	ds_load_2addr_b32 v[11:12], v7 offset0:5 offset1:248
	s_waitcnt lgkmcnt(2)
	v_dual_mov_b32 v7, v4 :: v_dual_mov_b32 v4, v14
.LBB0_13:
	s_or_b32 exec_lo, exec_lo, s1
	v_add_f32_e32 v14, v87, v63
	v_dual_add_f32 v15, v40, v87 :: v_dual_sub_f32 v16, v89, v90
	v_add_f32_e32 v87, v88, v68
	s_waitcnt lgkmcnt(0)
	s_delay_alu instid0(VALU_DEP_3) | instskip(NEXT) | instid1(VALU_DEP_3)
	v_fma_f32 v40, -0.5, v14, v40
	v_dual_add_f32 v14, v41, v88 :: v_dual_add_f32 v63, v15, v63
	s_delay_alu instid0(VALU_DEP_3) | instskip(NEXT) | instid1(VALU_DEP_2)
	v_dual_add_f32 v88, v83, v82 :: v_dual_fmac_f32 v41, -0.5, v87
	v_dual_fmamk_f32 v87, v16, 0xbf5db3d7, v40 :: v_dual_add_f32 v68, v14, v68
	v_dual_fmac_f32 v40, 0x3f5db3d7, v16 :: v_dual_sub_f32 v15, v81, v78
	v_sub_f32_e32 v16, v84, v85
	s_barrier
	buffer_gl0_inv
	v_fmamk_f32 v78, v15, 0xbf5db3d7, v41
	v_fmac_f32_e32 v41, 0x3f5db3d7, v15
	v_add_f32_e32 v15, v35, v79
	v_add_f32_e32 v14, v34, v83
	v_fma_f32 v34, -0.5, v88, v34
	s_delay_alu instid0(VALU_DEP_2) | instskip(NEXT) | instid1(VALU_DEP_2)
	v_dual_add_f32 v81, v14, v82 :: v_dual_add_f32 v14, v79, v57
	v_fmamk_f32 v82, v16, 0xbf5db3d7, v34
	v_fmac_f32_e32 v34, 0x3f5db3d7, v16
	s_delay_alu instid0(VALU_DEP_3) | instskip(SKIP_2) | instid1(VALU_DEP_3)
	v_dual_add_f32 v16, v61, v67 :: v_dual_fmac_f32 v35, -0.5, v14
	v_dual_sub_f32 v14, v60, v55 :: v_dual_add_f32 v55, v15, v57
	v_add_f32_e32 v15, v42, v61
	v_fma_f32 v42, -0.5, v16, v42
	s_delay_alu instid0(VALU_DEP_2) | instskip(SKIP_3) | instid1(VALU_DEP_3)
	v_add_f32_e32 v60, v15, v67
	v_dual_add_f32 v15, v43, v69 :: v_dual_sub_f32 v16, v65, v80
	v_fmamk_f32 v57, v14, 0xbf5db3d7, v35
	v_dual_fmac_f32 v35, 0x3f5db3d7, v14 :: v_dual_add_f32 v14, v69, v45
	v_add_f32_e32 v45, v15, v45
	s_delay_alu instid0(VALU_DEP_4) | instskip(SKIP_1) | instid1(VALU_DEP_4)
	v_fmamk_f32 v61, v16, 0xbf5db3d7, v42
	v_fmac_f32_e32 v42, 0x3f5db3d7, v16
	v_dual_add_f32 v16, v59, v51 :: v_dual_fmac_f32 v43, -0.5, v14
	v_sub_f32_e32 v14, v50, v47
	v_add_f32_e32 v15, v9, v59
                                        ; implicit-def: $vgpr65
	s_delay_alu instid0(VALU_DEP_3) | instskip(SKIP_2) | instid1(VALU_DEP_2)
	v_fma_f32 v47, -0.5, v16, v9
	v_dual_sub_f32 v9, v62, v70 :: v_dual_sub_f32 v16, v17, v48
	v_sub_f32_e32 v48, v53, v86
	v_fmamk_f32 v59, v9, 0xbf5db3d7, v47
	v_fmamk_f32 v50, v14, 0xbf5db3d7, v43
	v_dual_fmac_f32 v43, 0x3f5db3d7, v14 :: v_dual_add_f32 v14, v49, v44
	v_fmac_f32_e32 v47, 0x3f5db3d7, v9
	v_add_f32_e32 v9, v58, v71
	v_add_f32_e32 v51, v15, v51
	s_delay_alu instid0(VALU_DEP_4) | instskip(NEXT) | instid1(VALU_DEP_3)
	v_dual_add_f32 v15, v10, v49 :: v_dual_fmac_f32 v10, -0.5, v14
	v_dual_add_f32 v17, v8, v58 :: v_dual_fmac_f32 v8, -0.5, v9
	s_delay_alu instid0(VALU_DEP_2) | instskip(NEXT) | instid1(VALU_DEP_2)
	v_dual_add_f32 v14, v15, v44 :: v_dual_fmamk_f32 v15, v16, 0xbf5db3d7, v10
	v_dual_fmac_f32 v10, 0x3f5db3d7, v16 :: v_dual_add_f32 v9, v17, v71
	s_delay_alu instid0(VALU_DEP_3)
	v_fmamk_f32 v16, v48, 0xbf5db3d7, v8
	v_fmac_f32_e32 v8, 0x3f5db3d7, v48
	ds_store_2addr_b32 v1, v63, v87 offset1:81
	ds_store_b32 v1, v40 offset:648
	ds_store_2addr_b32 v54, v68, v78 offset1:81
	ds_store_b32 v54, v41 offset:648
	;; [unrolled: 2-line block ×4, first 2 shown]
	ds_store_2addr_b32 v94, v60, v61 offset0:89 offset1:170
	ds_store_b32 v93, v42 offset:3564
	ds_store_2addr_b32 v95, v45, v50 offset1:81
	ds_store_b32 v95, v43 offset:648
	ds_store_2addr_b32 v96, v51, v59 offset1:81
	ds_store_b32 v96, v47 offset:648
	ds_store_2addr_b32 v98, v14, v15 offset1:81
	ds_store_b32 v98, v10 offset:648
	ds_store_2addr_b32 v99, v9, v16 offset0:50 offset1:131
	ds_store_b32 v97, v8 offset:6480
	s_waitcnt lgkmcnt(0)
	s_barrier
	buffer_gl0_inv
	ds_load_2addr_b32 v[34:35], v1 offset1:63
	ds_load_2addr_b32 v[40:41], v1 offset0:126 offset1:243
	ds_load_2addr_b32 v[44:45], v52 offset0:102 offset1:165
	;; [unrolled: 1-line block ×9, first 2 shown]
	ds_load_b32 v67, v1 offset:6336
	s_and_saveexec_b32 s1, s0
	s_cbranch_execz .LBB0_15
; %bb.14:
	v_add_nc_u32_e32 v8, 0xa80, v1
	v_add_nc_u32_e32 v10, 0x1200, v1
	;; [unrolled: 1-line block ×3, first 2 shown]
	ds_load_2addr_b32 v[8:9], v8 offset0:3 offset1:246
	ds_load_2addr_b32 v[16:17], v10 offset0:9 offset1:252
	ds_load_b32 v65, v1 offset:6588
	ds_load_2addr_b32 v[14:15], v14 offset0:5 offset1:248
	s_waitcnt lgkmcnt(3)
	v_mov_b32_e32 v10, v8
	s_waitcnt lgkmcnt(2)
	v_mov_b32_e32 v8, v17
.LBB0_15:
	s_or_b32 exec_lo, exec_lo, s1
	s_and_saveexec_b32 s1, vcc_lo
	s_cbranch_execz .LBB0_18
; %bb.16:
	v_mul_u32_u24_e32 v1, 6, v46
	v_mad_u32_u24 v62, v46, 6, 0xfffffe86
	v_mul_u32_u24_e32 v17, 6, v0
	s_delay_alu instid0(VALU_DEP_3)
	v_lshlrev_b32_e32 v1, 3, v1
	s_clause 0x2
	global_load_b128 v[68:71], v1, s[4:5] offset:1920
	global_load_b128 v[72:75], v1, s[4:5] offset:1952
	;; [unrolled: 1-line block ×3, first 2 shown]
	v_mov_b32_e32 v63, 0
	v_lshlrev_b32_e32 v1, 3, v17
	v_mul_hi_u32 v17, 0x86d90545, v46
	s_clause 0x2
	global_load_b128 v[80:83], v1, s[4:5] offset:1920
	global_load_b128 v[84:87], v1, s[4:5] offset:1952
	;; [unrolled: 1-line block ×3, first 2 shown]
	v_lshrrev_b32_e32 v17, 7, v17
	s_waitcnt vmcnt(4) lgkmcnt(1)
	v_dual_mul_f32 v111, v58, v71 :: v_dual_mul_f32 v112, v51, v73
	s_waitcnt vmcnt(3)
	v_mul_f32_e32 v110, v55, v77
	v_lshlrev_b64 v[42:43], 3, v[62:63]
	v_mov_b32_e32 v1, v63
	v_mul_u32_u24_e32 v62, 0x5b2, v17
	s_waitcnt lgkmcnt(0)
	v_mul_f32_e32 v17, v67, v75
	s_waitcnt vmcnt(1)
	v_dual_mul_f32 v75, v66, v75 :: v_dual_mul_f32 v118, v61, v85
	s_waitcnt vmcnt(0)
	v_mul_f32_e32 v116, v59, v89
	v_add_co_u32 v42, vcc_lo, s4, v42
	v_add_co_ci_u32_e32 v43, vcc_lo, s5, v43, vcc_lo
	v_lshlrev_b64 v[46:47], 3, v[62:63]
	s_clause 0x2
	global_load_b128 v[92:95], v[42:43], off offset:1920
	global_load_b128 v[96:99], v[42:43], off offset:1952
	;; [unrolled: 1-line block ×3, first 2 shown]
	v_lshlrev_b64 v[42:43], 3, v[0:1]
	v_add_co_u32 v1, vcc_lo, s8, v2
	v_add_co_ci_u32_e32 v2, vcc_lo, s9, v3, vcc_lo
	v_mul_f32_e32 v62, v60, v79
	v_mul_f32_e32 v79, v38, v79
	;; [unrolled: 1-line block ×8, first 2 shown]
	v_fma_f32 v36, v36, v70, -v111
	v_fma_f32 v27, v27, v72, -v112
	v_mul_f32_e32 v3, v53, v69
	v_fma_f32 v17, v66, v74, -v17
	v_mul_f32_e32 v66, v39, v85
	v_fmac_f32_e32 v75, v67, v74
	v_fmac_f32_e32 v87, v56, v86
	;; [unrolled: 1-line block ×3, first 2 shown]
	v_fma_f32 v30, v30, v86, -v114
	v_fmac_f32_e32 v66, v61, v84
	v_add_co_u32 v1, vcc_lo, v1, v42
	v_add_co_ci_u32_e32 v2, vcc_lo, v2, v43, vcc_lo
	s_delay_alu instid0(VALU_DEP_2) | instskip(NEXT) | instid1(VALU_DEP_2)
	v_add_co_u32 v42, vcc_lo, 0x1000, v1
	v_add_co_ci_u32_e32 v43, vcc_lo, 0, v2, vcc_lo
	v_add_co_u32 v104, vcc_lo, v1, v46
	v_add_co_ci_u32_e32 v105, vcc_lo, v2, v47, vcc_lo
	;; [unrolled: 2-line block ×3, first 2 shown]
	s_delay_alu instid0(VALU_DEP_4) | instskip(NEXT) | instid1(VALU_DEP_4)
	v_add_co_u32 v106, vcc_lo, 0x3f0, v104
	v_add_co_ci_u32_e32 v107, vcc_lo, 0, v105, vcc_lo
	v_add_co_u32 v108, vcc_lo, 0x3000, v104
	v_add_co_ci_u32_e32 v109, vcc_lo, 0, v105, vcc_lo
	s_waitcnt vmcnt(2)
	v_mul_f32_e32 v56, v32, v93
	s_waitcnt vmcnt(0)
	v_mul_f32_e32 v48, v54, v101
	v_fmac_f32_e32 v71, v58, v70
	v_fmac_f32_e32 v79, v60, v78
	v_mul_f32_e32 v67, v22, v83
	v_sub_f32_e32 v70, v36, v27
	v_fma_f32 v3, v33, v68, -v3
	v_mul_f32_e32 v117, v44, v83
	v_mul_f32_e32 v58, v28, v101
	v_fmac_f32_e32 v67, v44, v82
	v_mul_f32_e32 v69, v33, v69
	v_fma_f32 v33, v38, v78, -v62
	v_fma_f32 v38, v39, v84, -v118
	v_sub_f32_e32 v62, v3, v17
	v_add_f32_e32 v78, v67, v66
	v_fma_f32 v22, v22, v82, -v117
	v_mul_f32_e32 v77, v29, v77
	v_fma_f32 v29, v29, v76, -v110
	v_dual_mul_f32 v89, v37, v89 :: v_dual_fmac_f32 v58, v54, v100
	v_fma_f32 v37, v37, v88, -v116
	v_mul_f32_e32 v44, v49, v103
	v_mul_f32_e32 v60, v26, v97
	v_fma_f32 v24, v24, v90, -v115
	v_fmac_f32_e32 v73, v51, v72
	v_fmac_f32_e32 v69, v53, v68
	;; [unrolled: 1-line block ×3, first 2 shown]
	v_add_f32_e32 v3, v3, v17
	v_add_f32_e32 v17, v33, v29
	v_sub_f32_e32 v68, v33, v29
	v_add_f32_e32 v76, v71, v73
	v_add_f32_e32 v72, v69, v75
	v_dual_add_f32 v27, v36, v27 :: v_dual_sub_f32 v36, v71, v73
	v_sub_f32_e32 v33, v79, v77
	v_mul_f32_e32 v53, v50, v97
	v_fmac_f32_e32 v60, v50, v96
	v_sub_f32_e32 v50, v3, v17
	v_mul_f32_e32 v113, v41, v81
	v_dual_mul_f32 v81, v21, v81 :: v_dual_fmac_f32 v56, v52, v92
	v_sub_f32_e32 v73, v22, v38
	v_add_f32_e32 v22, v22, v38
	v_sub_f32_e32 v38, v67, v66
	v_fma_f32 v21, v21, v80, -v113
	v_fmac_f32_e32 v81, v41, v80
	v_dual_mul_f32 v39, v52, v93 :: v_dual_add_f32 v52, v3, v27
	v_dual_mul_f32 v41, v57, v99 :: v_dual_sub_f32 v66, v76, v72
	v_sub_f32_e32 v29, v69, v75
	v_sub_f32_e32 v69, v21, v30
	v_sub_f32_e32 v71, v24, v37
	v_fmac_f32_e32 v89, v59, v88
	v_mul_f32_e32 v59, v25, v103
	v_fma_f32 v25, v25, v102, -v44
	v_add_f32_e32 v44, v68, v70
	v_dual_add_f32 v21, v21, v30 :: v_dual_add_f32 v24, v24, v37
	v_fma_f32 v32, v32, v92, -v39
	v_add_f32_e32 v74, v79, v77
	s_delay_alu instid0(VALU_DEP_4) | instskip(NEXT) | instid1(VALU_DEP_4)
	v_dual_add_f32 v44, v62, v44 :: v_dual_mul_f32 v55, v31, v99
	v_dual_mul_f32 v61, v23, v95 :: v_dual_add_f32 v80, v21, v22
	v_fma_f32 v31, v31, v98, -v41
	v_sub_f32_e32 v30, v81, v87
	v_fma_f32 v28, v28, v100, -v48
	v_sub_f32_e32 v39, v62, v68
	s_delay_alu instid0(VALU_DEP_4) | instskip(SKIP_2) | instid1(VALU_DEP_3)
	v_dual_sub_f32 v48, v74, v76 :: v_dual_sub_f32 v83, v32, v31
	v_sub_f32_e32 v79, v24, v22
	v_fmac_f32_e32 v61, v45, v94
	v_dual_sub_f32 v3, v27, v3 :: v_dual_mul_f32 v48, 0x3d64c772, v48
	s_delay_alu instid0(VALU_DEP_2)
	v_add_f32_e32 v86, v61, v60
	v_mul_f32_e32 v51, v45, v95
	v_sub_f32_e32 v67, v71, v73
	v_fmac_f32_e32 v59, v49, v102
	v_add_f32_e32 v75, v81, v87
	v_sub_f32_e32 v45, v72, v74
	v_add_f32_e32 v49, v72, v76
	s_delay_alu instid0(VALU_DEP_4) | instskip(NEXT) | instid1(VALU_DEP_4)
	v_dual_sub_f32 v76, v21, v24 :: v_dual_add_f32 v85, v59, v58
	v_add_f32_e32 v72, v75, v78
	v_dual_sub_f32 v41, v68, v70 :: v_dual_add_f32 v68, v71, v73
	v_fma_f32 v23, v23, v94, -v51
	v_sub_f32_e32 v51, v17, v27
	v_sub_f32_e32 v27, v36, v29
	v_fmac_f32_e32 v55, v57, v98
	v_sub_f32_e32 v57, v70, v62
	v_add_f32_e32 v17, v17, v52
	v_add_f32_e32 v24, v24, v80
	;; [unrolled: 1-line block ×4, first 2 shown]
	v_sub_f32_e32 v54, v33, v36
	v_fma_f32 v26, v26, v96, -v53
	v_sub_f32_e32 v53, v29, v33
	v_add_f32_e32 v33, v33, v36
	v_dual_sub_f32 v36, v69, v71 :: v_dual_add_f32 v77, v91, v89
	v_dual_sub_f32 v32, v61, v60 :: v_dual_sub_f32 v37, v91, v89
	v_mul_f32_e32 v52, 0xbf08b237, v54
	v_sub_f32_e32 v80, v85, v86
	s_delay_alu instid0(VALU_DEP_4) | instskip(NEXT) | instid1(VALU_DEP_4)
	v_dual_sub_f32 v70, v75, v77 :: v_dual_sub_f32 v71, v77, v78
	v_sub_f32_e32 v82, v37, v38
	v_mul_f32_e32 v54, 0x3f5ff5aa, v27
	v_dual_add_f32 v62, v77, v72 :: v_dual_mul_f32 v41, 0xbf08b237, v41
	v_sub_f32_e32 v75, v78, v75
	v_dual_sub_f32 v78, v22, v21 :: v_dual_sub_f32 v21, v25, v28
	v_add_f32_e32 v20, v20, v17
	v_dual_sub_f32 v22, v23, v26 :: v_dual_add_f32 v25, v25, v28
	v_dual_sub_f32 v28, v59, v58 :: v_dual_sub_f32 v81, v30, v37
	v_dual_add_f32 v23, v23, v26 :: v_dual_sub_f32 v26, v56, v55
	v_sub_f32_e32 v73, v73, v69
	v_dual_add_f32 v59, v69, v68 :: v_dual_mul_f32 v60, 0x3f4a47b2, v70
	v_mul_f32_e32 v69, 0xbf08b237, v82
	v_dual_add_f32 v82, v84, v86 :: v_dual_add_f32 v49, v74, v49
	v_sub_f32_e32 v90, v26, v28
	v_sub_f32_e32 v91, v28, v32
	v_dual_add_f32 v28, v28, v32 :: v_dual_mul_f32 v51, 0x3d64c772, v51
	v_add_f32_e32 v37, v37, v38
	v_sub_f32_e32 v38, v38, v30
	v_mul_f32_e32 v56, 0x3f4a47b2, v50
	v_sub_f32_e32 v72, v83, v21
	v_sub_f32_e32 v74, v21, v22
	v_add_f32_e32 v77, v21, v22
	v_sub_f32_e32 v32, v32, v26
	v_dual_add_f32 v21, v40, v49 :: v_dual_add_f32 v26, v26, v28
	v_fmamk_f32 v40, v50, 0x3f4a47b2, v51
	v_mul_f32_e32 v61, 0x3d64c772, v71
	v_dual_sub_f32 v92, v22, v83 :: v_dual_add_f32 v29, v29, v33
	v_fmamk_f32 v50, v53, 0x3eae86e6, v52
	v_mul_f32_e32 v58, 0xbf08b237, v67
	v_mul_f32_e32 v68, 0x3d64c772, v79
	s_delay_alu instid0(VALU_DEP_4)
	v_dual_mul_f32 v28, 0x3f5ff5aa, v92 :: v_dual_sub_f32 v79, v84, v85
	v_sub_f32_e32 v84, v86, v84
	v_add_f32_e32 v30, v30, v37
	v_mul_f32_e32 v55, 0x3f4a47b2, v45
	v_fma_f32 v53, 0xbeae86e6, v53, -v54
	v_fma_f32 v52, 0x3f5ff5aa, v27, -v52
	v_add_f32_e32 v22, v18, v24
	v_fmamk_f32 v54, v81, 0x3eae86e6, v69
	v_sub_f32_e32 v88, v25, v23
	v_fmac_f32_e32 v50, 0x3ee1c552, v29
	v_dual_fmamk_f32 v27, v70, 0x3f4a47b2, v61 :: v_dual_add_f32 v70, v85, v82
	v_mul_f32_e32 v33, 0x3f5ff5aa, v57
	v_dual_sub_f32 v87, v31, v25 :: v_dual_fmamk_f32 v24, v24, 0xbf955555, v22
	v_dual_add_f32 v89, v31, v23 :: v_dual_fmac_f32 v52, 0x3ee1c552, v29
	v_fmamk_f32 v86, v39, 0x3eae86e6, v41
	v_fmamk_f32 v45, v45, 0x3f4a47b2, v48
	v_fma_f32 v48, 0x3f3bfb3b, v66, -v48
	v_add_f32_e32 v18, v35, v70
	v_fma_f32 v33, 0xbeae86e6, v39, -v33
	v_fma_f32 v39, 0xbf3bfb3b, v66, -v55
	;; [unrolled: 1-line block ×4, first 2 shown]
	v_fmamk_f32 v51, v36, 0x3eae86e6, v58
	v_fma_f32 v58, 0x3f5ff5aa, v73, -v58
	v_dual_mul_f32 v66, 0xbf08b237, v74 :: v_dual_sub_f32 v31, v23, v31
	v_dual_add_f32 v23, v34, v62 :: v_dual_fmamk_f32 v34, v76, 0x3f4a47b2, v68
	s_delay_alu instid0(VALU_DEP_3)
	v_fmac_f32_e32 v58, 0x3ee1c552, v59
	v_mul_f32_e32 v37, 0x3f5ff5aa, v73
	v_fmac_f32_e32 v54, 0x3ee1c552, v30
	v_mul_f32_e32 v74, 0xbf08b237, v91
	v_fmac_f32_e32 v53, 0x3ee1c552, v29
	v_fma_f32 v41, 0x3f5ff5aa, v57, -v41
	v_fma_f32 v56, 0xbeae86e6, v36, -v37
	v_fma_f32 v36, 0xbf3bfb3b, v75, -v60
	v_fmac_f32_e32 v86, 0x3ee1c552, v44
	s_delay_alu instid0(VALU_DEP_3) | instskip(SKIP_3) | instid1(VALU_DEP_1)
	v_fmac_f32_e32 v56, 0x3ee1c552, v59
	v_fmamk_f32 v49, v49, 0xbf955555, v21
	v_mul_f32_e32 v67, 0x3f4a47b2, v76
	v_fmamk_f32 v76, v17, 0xbf955555, v20
	v_add_f32_e32 v40, v40, v76
	v_fma_f32 v60, 0x3f3bfb3b, v75, -v61
	v_fma_f32 v61, 0x3f5ff5aa, v38, -v69
	v_add_f32_e32 v3, v3, v76
	v_mul_f32_e32 v75, 0x3f5ff5aa, v32
	v_mul_f32_e32 v73, 0x3d64c772, v88
	s_delay_alu instid0(VALU_DEP_4)
	v_fmac_f32_e32 v61, 0x3ee1c552, v30
	v_fmamk_f32 v29, v62, 0xbf955555, v23
	v_mul_f32_e32 v71, 0x3f5ff5aa, v38
	v_dual_fmamk_f32 v62, v72, 0x3eae86e6, v66 :: v_dual_add_f32 v25, v25, v89
	v_fma_f32 v38, 0x3f3bfb3b, v78, -v68
	v_mul_f32_e32 v68, 0x3f4a47b2, v79
	s_delay_alu instid0(VALU_DEP_4)
	v_fma_f32 v57, 0xbeae86e6, v81, -v71
	v_mul_f32_e32 v71, 0x3f4a47b2, v87
	v_add_f32_e32 v17, v19, v25
	v_fma_f32 v72, 0xbeae86e6, v72, -v28
	v_fma_f32 v66, 0x3f5ff5aa, v92, -v66
	v_fmac_f32_e32 v57, 0x3ee1c552, v30
	v_fma_f32 v71, 0xbf3bfb3b, v31, -v71
	v_fmamk_f32 v19, v90, 0x3eae86e6, v74
	v_fma_f32 v74, 0x3f5ff5aa, v32, -v74
	v_add_f32_e32 v32, v39, v49
	v_fma_f32 v37, 0xbf3bfb3b, v78, -v67
	v_add_f32_e32 v67, v83, v77
	v_fmac_f32_e32 v33, 0x3ee1c552, v44
	v_dual_fmac_f32 v41, 0x3ee1c552, v44 :: v_dual_fmac_f32 v74, 0x3ee1c552, v26
	v_add_f32_e32 v44, v60, v29
	v_fmamk_f32 v60, v70, 0xbf955555, v18
	v_dual_fmac_f32 v62, 0x3ee1c552, v67 :: v_dual_add_f32 v39, v55, v76
	v_fmamk_f32 v70, v25, 0xbf955555, v17
	v_add_f32_e32 v76, v34, v24
	v_dual_add_f32 v34, v50, v40 :: v_dual_add_f32 v35, v45, v49
	v_dual_add_f32 v30, v48, v49 :: v_dual_add_f32 v49, v38, v24
	v_fma_f32 v68, 0xbf3bfb3b, v84, -v68
	v_add_f32_e32 v78, v37, v24
	v_fmac_f32_e32 v72, 0x3ee1c552, v67
	v_fmac_f32_e32 v66, 0x3ee1c552, v67
	v_dual_mul_f32 v69, 0x3d64c772, v80 :: v_dual_sub_f32 v24, v40, v50
	v_dual_add_f32 v28, v52, v3 :: v_dual_fmamk_f32 v77, v87, 0x3f4a47b2, v73
	v_add_f32_e32 v50, v54, v76
	v_add_f32_e32 v40, v61, v49
	;; [unrolled: 1-line block ×4, first 2 shown]
	v_dual_sub_f32 v33, v32, v33 :: v_dual_add_f32 v32, v53, v39
	v_fma_f32 v75, 0xbeae86e6, v90, -v75
	v_fmac_f32_e32 v51, 0x3ee1c552, v59
	v_fma_f32 v73, 0x3f3bfb3b, v31, -v73
	v_add_f32_e32 v48, v36, v29
	v_dual_sub_f32 v36, v76, v54 :: v_dual_sub_f32 v29, v30, v41
	v_add_f32_e32 v31, v41, v30
	v_sub_f32_e32 v41, v44, v58
	v_dual_add_f32 v45, v58, v44 :: v_dual_sub_f32 v44, v49, v61
	v_dual_add_f32 v76, v77, v70 :: v_dual_add_f32 v61, v68, v60
	v_add_f32_e32 v68, v71, v70
	v_fmac_f32_e32 v19, 0x3ee1c552, v26
	v_dual_fmac_f32 v75, 0x3ee1c552, v26 :: v_dual_sub_f32 v26, v39, v53
	v_fmamk_f32 v59, v79, 0x3f4a47b2, v69
	v_fma_f32 v69, 0x3f3bfb3b, v84, -v69
	v_sub_f32_e32 v30, v3, v52
	v_add_f32_e32 v39, v56, v48
	v_dual_sub_f32 v49, v48, v56 :: v_dual_add_f32 v48, v57, v78
	v_add_f32_e32 v3, v59, v60
	v_add_f32_e32 v58, v69, v60
	v_dual_add_f32 v60, v73, v70 :: v_dual_add_f32 v37, v51, v55
	v_dual_sub_f32 v51, v55, v51 :: v_dual_sub_f32 v38, v78, v57
	s_delay_alu instid0(VALU_DEP_3) | instskip(NEXT) | instid1(VALU_DEP_3)
	v_sub_f32_e32 v57, v58, v66
	v_add_f32_e32 v56, v74, v60
	v_add_f32_e32 v59, v66, v58
	v_sub_f32_e32 v67, v3, v62
	v_dual_add_f32 v66, v19, v76 :: v_dual_add_f32 v53, v62, v3
	v_sub_f32_e32 v52, v76, v19
	v_dual_add_f32 v25, v86, v35 :: v_dual_sub_f32 v58, v60, v74
	v_add_f32_e32 v55, v72, v61
	v_dual_sub_f32 v54, v68, v75 :: v_dual_sub_f32 v61, v61, v72
	v_add_f32_e32 v60, v75, v68
	s_clause 0xd
	global_store_b64 v[1:2], v[22:23], off
	global_store_b64 v[1:2], v[17:18], off offset:504
	global_store_b64 v[1:2], v[50:51], off offset:1944
	;; [unrolled: 1-line block ×13, first 2 shown]
	v_add_co_u32 v17, vcc_lo, 0x1000, v104
	v_sub_f32_e32 v35, v35, v86
	v_add_co_ci_u32_e32 v18, vcc_lo, 0, v105, vcc_lo
	v_add_co_u32 v22, vcc_lo, 0x2000, v104
	v_add_co_ci_u32_e32 v23, vcc_lo, 0, v105, vcc_lo
	s_clause 0x6
	global_store_b64 v[104:105], v[20:21], off offset:1008
	global_store_b64 v[104:105], v[34:35], off offset:2952
	;; [unrolled: 1-line block ×7, first 2 shown]
	s_and_b32 exec_lo, exec_lo, s0
	s_cbranch_execz .LBB0_18
; %bb.17:
	v_subrev_nc_u32_e32 v0, 54, v0
	s_delay_alu instid0(VALU_DEP_1) | instskip(NEXT) | instid1(VALU_DEP_1)
	v_cndmask_b32_e64 v0, v0, v64, s0
	v_mul_i32_i24_e32 v62, 6, v0
	s_delay_alu instid0(VALU_DEP_1) | instskip(NEXT) | instid1(VALU_DEP_1)
	v_lshlrev_b64 v[17:18], 3, v[62:63]
	v_add_co_u32 v25, vcc_lo, s4, v17
	s_delay_alu instid0(VALU_DEP_2)
	v_add_co_ci_u32_e32 v26, vcc_lo, s5, v18, vcc_lo
	v_add_co_u32 v29, vcc_lo, 0x3000, v1
	v_add_co_ci_u32_e32 v30, vcc_lo, 0, v2, vcc_lo
	s_clause 0x2
	global_load_b128 v[17:20], v[25:26], off offset:1920
	global_load_b128 v[21:24], v[25:26], off offset:1936
	;; [unrolled: 1-line block ×3, first 2 shown]
	s_waitcnt vmcnt(2)
	v_mul_f32_e32 v3, v12, v18
	s_waitcnt vmcnt(1)
	v_dual_mul_f32 v31, v9, v22 :: v_dual_mul_f32 v32, v16, v24
	v_mul_f32_e32 v22, v5, v22
	s_waitcnt vmcnt(0)
	v_mul_f32_e32 v33, v8, v26
	s_delay_alu instid0(VALU_DEP_3) | instskip(NEXT) | instid1(VALU_DEP_3)
	v_fma_f32 v5, v5, v21, -v31
	v_fmac_f32_e32 v22, v9, v21
	v_mul_f32_e32 v34, v65, v28
	v_fma_f32 v9, v13, v23, -v32
	v_mul_f32_e32 v28, v6, v28
	v_mul_f32_e32 v0, v15, v18
	;; [unrolled: 1-line block ×4, first 2 shown]
	s_delay_alu instid0(VALU_DEP_4) | instskip(SKIP_1) | instid1(VALU_DEP_4)
	v_dual_fmac_f32 v3, v15, v17 :: v_dual_fmac_f32 v28, v65, v27
	v_mul_f32_e32 v26, v4, v26
	v_fma_f32 v7, v7, v19, -v18
	s_delay_alu instid0(VALU_DEP_4)
	v_fmac_f32_e32 v20, v10, v19
	v_fma_f32 v6, v6, v27, -v34
	v_add_f32_e32 v10, v3, v28
	v_dual_sub_f32 v3, v3, v28 :: v_dual_fmac_f32 v26, v8, v25
	v_mul_f32_e32 v24, v13, v24
	v_fma_f32 v4, v4, v25, -v33
	v_add_f32_e32 v13, v5, v9
	v_fma_f32 v0, v12, v17, -v0
	v_dual_add_f32 v12, v20, v26 :: v_dual_sub_f32 v5, v9, v5
	s_delay_alu instid0(VALU_DEP_2) | instskip(SKIP_2) | instid1(VALU_DEP_4)
	v_add_f32_e32 v8, v0, v6
	v_sub_f32_e32 v0, v0, v6
	v_add_f32_e32 v6, v7, v4
	v_dual_sub_f32 v4, v7, v4 :: v_dual_add_f32 v17, v12, v10
	v_sub_f32_e32 v7, v20, v26
	v_fmac_f32_e32 v24, v16, v23
	s_delay_alu instid0(VALU_DEP_3) | instskip(NEXT) | instid1(VALU_DEP_2)
	v_dual_sub_f32 v19, v12, v10 :: v_dual_add_f32 v20, v5, v4
	v_sub_f32_e32 v9, v24, v22
	s_delay_alu instid0(VALU_DEP_1)
	v_add_f32_e32 v21, v9, v7
	v_sub_f32_e32 v23, v9, v7
	v_sub_f32_e32 v9, v3, v9
	v_add_f32_e32 v15, v22, v24
	v_add_f32_e32 v16, v6, v8
	v_dual_sub_f32 v22, v5, v4 :: v_dual_sub_f32 v7, v7, v3
	v_sub_f32_e32 v18, v6, v8
	v_sub_f32_e32 v8, v8, v13
	v_dual_sub_f32 v6, v13, v6 :: v_dual_sub_f32 v5, v0, v5
	v_dual_add_f32 v13, v13, v16 :: v_dual_sub_f32 v10, v10, v15
	v_dual_add_f32 v16, v21, v3 :: v_dual_mul_f32 v21, 0xbf08b237, v22
	v_sub_f32_e32 v12, v15, v12
	v_add_f32_e32 v15, v15, v17
	s_delay_alu instid0(VALU_DEP_4) | instskip(SKIP_2) | instid1(VALU_DEP_3)
	v_dual_add_f32 v3, v11, v13 :: v_dual_mul_f32 v10, 0x3f4a47b2, v10
	v_mul_f32_e32 v22, 0xbf08b237, v23
	v_mul_f32_e32 v25, 0x3f5ff5aa, v7
	v_fmamk_f32 v11, v12, 0x3d64c772, v10
	v_dual_mul_f32 v17, 0x3d64c772, v6 :: v_dual_sub_f32 v24, v4, v0
	v_fma_f32 v10, 0xbf3bfb3b, v19, -v10
	v_add_f32_e32 v0, v20, v0
	v_mul_f32_e32 v20, 0x3d64c772, v12
	s_delay_alu instid0(VALU_DEP_4) | instskip(SKIP_2) | instid1(VALU_DEP_4)
	v_dual_add_f32 v4, v14, v15 :: v_dual_mul_f32 v23, 0x3f5ff5aa, v24
	v_mul_f32_e32 v8, 0x3f4a47b2, v8
	v_fma_f32 v12, 0x3f3bfb3b, v18, -v17
	v_fma_f32 v14, 0x3f3bfb3b, v19, -v20
	v_fmamk_f32 v17, v5, 0x3eae86e6, v21
	v_fma_f32 v20, 0x3f5ff5aa, v7, -v22
	v_fmamk_f32 v7, v15, 0xbf955555, v4
	v_fma_f32 v19, 0x3f5ff5aa, v24, -v21
	v_fma_f32 v21, 0xbeae86e6, v5, -v23
	v_fmamk_f32 v5, v13, 0xbf955555, v3
	s_delay_alu instid0(VALU_DEP_4)
	v_add_f32_e32 v15, v10, v7
	v_fmac_f32_e32 v17, 0x3ee1c552, v0
	v_fmac_f32_e32 v20, 0x3ee1c552, v16
	v_fmamk_f32 v6, v6, 0x3d64c772, v8
	v_fma_f32 v8, 0xbf3bfb3b, v18, -v8
	v_fmamk_f32 v18, v9, 0x3eae86e6, v22
	v_fma_f32 v22, 0xbeae86e6, v9, -v25
	v_fmac_f32_e32 v19, 0x3ee1c552, v0
	s_delay_alu instid0(VALU_DEP_3) | instskip(NEXT) | instid1(VALU_DEP_3)
	v_dual_add_f32 v13, v8, v5 :: v_dual_fmac_f32 v18, 0x3ee1c552, v16
	v_fmac_f32_e32 v22, 0x3ee1c552, v16
	v_dual_add_f32 v16, v11, v7 :: v_dual_add_f32 v11, v12, v5
	v_add_f32_e32 v12, v14, v7
	s_delay_alu instid0(VALU_DEP_3) | instskip(SKIP_1) | instid1(VALU_DEP_4)
	v_add_f32_e32 v7, v22, v13
	v_sub_f32_e32 v13, v13, v22
	v_sub_f32_e32 v9, v11, v20
	v_dual_fmac_f32 v21, 0x3ee1c552, v0 :: v_dual_add_f32 v0, v6, v5
	v_sub_f32_e32 v6, v16, v17
	v_add_f32_e32 v10, v19, v12
	v_sub_f32_e32 v12, v12, v19
	s_delay_alu instid0(VALU_DEP_4)
	v_dual_sub_f32 v8, v15, v21 :: v_dual_add_f32 v5, v18, v0
	v_dual_add_f32 v14, v21, v15 :: v_dual_sub_f32 v15, v0, v18
	v_dual_add_f32 v11, v20, v11 :: v_dual_add_f32 v16, v17, v16
	s_clause 0x6
	global_store_b64 v[1:2], v[3:4], off offset:1512
	global_store_b64 v[1:2], v[5:6], off offset:3456
	;; [unrolled: 1-line block ×7, first 2 shown]
.LBB0_18:
	s_nop 0
	s_sendmsg sendmsg(MSG_DEALLOC_VGPRS)
	s_endpgm
	.section	.rodata,"a",@progbits
	.p2align	6, 0x0
	.amdhsa_kernel fft_rtc_fwd_len1701_factors_3_3_3_3_3_7_wgs_63_tpt_63_halfLds_sp_ip_CI_unitstride_sbrr_dirReg
		.amdhsa_group_segment_fixed_size 0
		.amdhsa_private_segment_fixed_size 0
		.amdhsa_kernarg_size 88
		.amdhsa_user_sgpr_count 15
		.amdhsa_user_sgpr_dispatch_ptr 0
		.amdhsa_user_sgpr_queue_ptr 0
		.amdhsa_user_sgpr_kernarg_segment_ptr 1
		.amdhsa_user_sgpr_dispatch_id 0
		.amdhsa_user_sgpr_private_segment_size 0
		.amdhsa_wavefront_size32 1
		.amdhsa_uses_dynamic_stack 0
		.amdhsa_enable_private_segment 0
		.amdhsa_system_sgpr_workgroup_id_x 1
		.amdhsa_system_sgpr_workgroup_id_y 0
		.amdhsa_system_sgpr_workgroup_id_z 0
		.amdhsa_system_sgpr_workgroup_info 0
		.amdhsa_system_vgpr_workitem_id 0
		.amdhsa_next_free_vgpr 127
		.amdhsa_next_free_sgpr 21
		.amdhsa_reserve_vcc 1
		.amdhsa_float_round_mode_32 0
		.amdhsa_float_round_mode_16_64 0
		.amdhsa_float_denorm_mode_32 3
		.amdhsa_float_denorm_mode_16_64 3
		.amdhsa_dx10_clamp 1
		.amdhsa_ieee_mode 1
		.amdhsa_fp16_overflow 0
		.amdhsa_workgroup_processor_mode 1
		.amdhsa_memory_ordered 1
		.amdhsa_forward_progress 0
		.amdhsa_shared_vgpr_count 0
		.amdhsa_exception_fp_ieee_invalid_op 0
		.amdhsa_exception_fp_denorm_src 0
		.amdhsa_exception_fp_ieee_div_zero 0
		.amdhsa_exception_fp_ieee_overflow 0
		.amdhsa_exception_fp_ieee_underflow 0
		.amdhsa_exception_fp_ieee_inexact 0
		.amdhsa_exception_int_div_zero 0
	.end_amdhsa_kernel
	.text
.Lfunc_end0:
	.size	fft_rtc_fwd_len1701_factors_3_3_3_3_3_7_wgs_63_tpt_63_halfLds_sp_ip_CI_unitstride_sbrr_dirReg, .Lfunc_end0-fft_rtc_fwd_len1701_factors_3_3_3_3_3_7_wgs_63_tpt_63_halfLds_sp_ip_CI_unitstride_sbrr_dirReg
                                        ; -- End function
	.section	.AMDGPU.csdata,"",@progbits
; Kernel info:
; codeLenInByte = 16624
; NumSgprs: 23
; NumVgprs: 127
; ScratchSize: 0
; MemoryBound: 0
; FloatMode: 240
; IeeeMode: 1
; LDSByteSize: 0 bytes/workgroup (compile time only)
; SGPRBlocks: 2
; VGPRBlocks: 15
; NumSGPRsForWavesPerEU: 23
; NumVGPRsForWavesPerEU: 127
; Occupancy: 10
; WaveLimiterHint : 1
; COMPUTE_PGM_RSRC2:SCRATCH_EN: 0
; COMPUTE_PGM_RSRC2:USER_SGPR: 15
; COMPUTE_PGM_RSRC2:TRAP_HANDLER: 0
; COMPUTE_PGM_RSRC2:TGID_X_EN: 1
; COMPUTE_PGM_RSRC2:TGID_Y_EN: 0
; COMPUTE_PGM_RSRC2:TGID_Z_EN: 0
; COMPUTE_PGM_RSRC2:TIDIG_COMP_CNT: 0
	.text
	.p2alignl 7, 3214868480
	.fill 96, 4, 3214868480
	.type	__hip_cuid_2e7dddba6ea08e60,@object ; @__hip_cuid_2e7dddba6ea08e60
	.section	.bss,"aw",@nobits
	.globl	__hip_cuid_2e7dddba6ea08e60
__hip_cuid_2e7dddba6ea08e60:
	.byte	0                               ; 0x0
	.size	__hip_cuid_2e7dddba6ea08e60, 1

	.ident	"AMD clang version 19.0.0git (https://github.com/RadeonOpenCompute/llvm-project roc-6.4.0 25133 c7fe45cf4b819c5991fe208aaa96edf142730f1d)"
	.section	".note.GNU-stack","",@progbits
	.addrsig
	.addrsig_sym __hip_cuid_2e7dddba6ea08e60
	.amdgpu_metadata
---
amdhsa.kernels:
  - .args:
      - .actual_access:  read_only
        .address_space:  global
        .offset:         0
        .size:           8
        .value_kind:     global_buffer
      - .offset:         8
        .size:           8
        .value_kind:     by_value
      - .actual_access:  read_only
        .address_space:  global
        .offset:         16
        .size:           8
        .value_kind:     global_buffer
      - .actual_access:  read_only
        .address_space:  global
        .offset:         24
        .size:           8
        .value_kind:     global_buffer
      - .offset:         32
        .size:           8
        .value_kind:     by_value
      - .actual_access:  read_only
        .address_space:  global
        .offset:         40
        .size:           8
        .value_kind:     global_buffer
      - .actual_access:  read_only
        .address_space:  global
        .offset:         48
        .size:           8
        .value_kind:     global_buffer
      - .offset:         56
        .size:           4
        .value_kind:     by_value
      - .actual_access:  read_only
        .address_space:  global
        .offset:         64
        .size:           8
        .value_kind:     global_buffer
      - .actual_access:  read_only
        .address_space:  global
        .offset:         72
        .size:           8
        .value_kind:     global_buffer
      - .address_space:  global
        .offset:         80
        .size:           8
        .value_kind:     global_buffer
    .group_segment_fixed_size: 0
    .kernarg_segment_align: 8
    .kernarg_segment_size: 88
    .language:       OpenCL C
    .language_version:
      - 2
      - 0
    .max_flat_workgroup_size: 63
    .name:           fft_rtc_fwd_len1701_factors_3_3_3_3_3_7_wgs_63_tpt_63_halfLds_sp_ip_CI_unitstride_sbrr_dirReg
    .private_segment_fixed_size: 0
    .sgpr_count:     23
    .sgpr_spill_count: 0
    .symbol:         fft_rtc_fwd_len1701_factors_3_3_3_3_3_7_wgs_63_tpt_63_halfLds_sp_ip_CI_unitstride_sbrr_dirReg.kd
    .uniform_work_group_size: 1
    .uses_dynamic_stack: false
    .vgpr_count:     127
    .vgpr_spill_count: 0
    .wavefront_size: 32
    .workgroup_processor_mode: 1
amdhsa.target:   amdgcn-amd-amdhsa--gfx1100
amdhsa.version:
  - 1
  - 2
...

	.end_amdgpu_metadata
